;; amdgpu-corpus repo=ROCm/rocFFT kind=compiled arch=gfx1030 opt=O3
	.text
	.amdgcn_target "amdgcn-amd-amdhsa--gfx1030"
	.amdhsa_code_object_version 6
	.protected	fft_rtc_fwd_len1989_factors_17_13_9_wgs_153_tpt_153_halfLds_half_ip_CI_sbrr_dirReg ; -- Begin function fft_rtc_fwd_len1989_factors_17_13_9_wgs_153_tpt_153_halfLds_half_ip_CI_sbrr_dirReg
	.globl	fft_rtc_fwd_len1989_factors_17_13_9_wgs_153_tpt_153_halfLds_half_ip_CI_sbrr_dirReg
	.p2align	8
	.type	fft_rtc_fwd_len1989_factors_17_13_9_wgs_153_tpt_153_halfLds_half_ip_CI_sbrr_dirReg,@function
fft_rtc_fwd_len1989_factors_17_13_9_wgs_153_tpt_153_halfLds_half_ip_CI_sbrr_dirReg: ; @fft_rtc_fwd_len1989_factors_17_13_9_wgs_153_tpt_153_halfLds_half_ip_CI_sbrr_dirReg
; %bb.0:
	s_clause 0x2
	s_load_dwordx2 s[14:15], s[4:5], 0x18
	s_load_dwordx4 s[8:11], s[4:5], 0x0
	s_load_dwordx2 s[12:13], s[4:5], 0x50
	v_mul_u32_u24_e32 v1, 0x1ad, v0
	v_mov_b32_e32 v3, 0
	v_add_nc_u32_sdwa v5, s6, v1 dst_sel:DWORD dst_unused:UNUSED_PAD src0_sel:DWORD src1_sel:WORD_1
	v_mov_b32_e32 v1, 0
	v_mov_b32_e32 v6, v3
	v_mov_b32_e32 v2, 0
	s_waitcnt lgkmcnt(0)
	s_load_dwordx2 s[2:3], s[14:15], 0x0
	v_cmp_lt_u64_e64 s0, s[10:11], 2
	s_and_b32 vcc_lo, exec_lo, s0
	s_cbranch_vccnz .LBB0_8
; %bb.1:
	s_load_dwordx2 s[0:1], s[4:5], 0x10
	v_mov_b32_e32 v1, 0
	s_add_u32 s6, s14, 8
	v_mov_b32_e32 v2, 0
	s_addc_u32 s7, s15, 0
	s_mov_b64 s[18:19], 1
	s_waitcnt lgkmcnt(0)
	s_add_u32 s16, s0, 8
	s_addc_u32 s17, s1, 0
.LBB0_2:                                ; =>This Inner Loop Header: Depth=1
	s_load_dwordx2 s[20:21], s[16:17], 0x0
                                        ; implicit-def: $vgpr7_vgpr8
	s_mov_b32 s0, exec_lo
	s_waitcnt lgkmcnt(0)
	v_or_b32_e32 v4, s21, v6
	v_cmpx_ne_u64_e32 0, v[3:4]
	s_xor_b32 s1, exec_lo, s0
	s_cbranch_execz .LBB0_4
; %bb.3:                                ;   in Loop: Header=BB0_2 Depth=1
	v_cvt_f32_u32_e32 v4, s20
	v_cvt_f32_u32_e32 v7, s21
	s_sub_u32 s0, 0, s20
	s_subb_u32 s22, 0, s21
	v_fmac_f32_e32 v4, 0x4f800000, v7
	v_rcp_f32_e32 v4, v4
	v_mul_f32_e32 v4, 0x5f7ffffc, v4
	v_mul_f32_e32 v7, 0x2f800000, v4
	v_trunc_f32_e32 v7, v7
	v_fmac_f32_e32 v4, 0xcf800000, v7
	v_cvt_u32_f32_e32 v7, v7
	v_cvt_u32_f32_e32 v4, v4
	v_mul_lo_u32 v8, s0, v7
	v_mul_hi_u32 v9, s0, v4
	v_mul_lo_u32 v10, s22, v4
	v_add_nc_u32_e32 v8, v9, v8
	v_mul_lo_u32 v9, s0, v4
	v_add_nc_u32_e32 v8, v8, v10
	v_mul_hi_u32 v10, v4, v9
	v_mul_lo_u32 v11, v4, v8
	v_mul_hi_u32 v12, v4, v8
	v_mul_hi_u32 v13, v7, v9
	v_mul_lo_u32 v9, v7, v9
	v_mul_hi_u32 v14, v7, v8
	v_mul_lo_u32 v8, v7, v8
	v_add_co_u32 v10, vcc_lo, v10, v11
	v_add_co_ci_u32_e32 v11, vcc_lo, 0, v12, vcc_lo
	v_add_co_u32 v9, vcc_lo, v10, v9
	v_add_co_ci_u32_e32 v9, vcc_lo, v11, v13, vcc_lo
	v_add_co_ci_u32_e32 v10, vcc_lo, 0, v14, vcc_lo
	v_add_co_u32 v8, vcc_lo, v9, v8
	v_add_co_ci_u32_e32 v9, vcc_lo, 0, v10, vcc_lo
	v_add_co_u32 v4, vcc_lo, v4, v8
	v_add_co_ci_u32_e32 v7, vcc_lo, v7, v9, vcc_lo
	v_mul_hi_u32 v8, s0, v4
	v_mul_lo_u32 v10, s22, v4
	v_mul_lo_u32 v9, s0, v7
	v_add_nc_u32_e32 v8, v8, v9
	v_mul_lo_u32 v9, s0, v4
	v_add_nc_u32_e32 v8, v8, v10
	v_mul_hi_u32 v10, v4, v9
	v_mul_lo_u32 v11, v4, v8
	v_mul_hi_u32 v12, v4, v8
	v_mul_hi_u32 v13, v7, v9
	v_mul_lo_u32 v9, v7, v9
	v_mul_hi_u32 v14, v7, v8
	v_mul_lo_u32 v8, v7, v8
	v_add_co_u32 v10, vcc_lo, v10, v11
	v_add_co_ci_u32_e32 v11, vcc_lo, 0, v12, vcc_lo
	v_add_co_u32 v9, vcc_lo, v10, v9
	v_add_co_ci_u32_e32 v9, vcc_lo, v11, v13, vcc_lo
	v_add_co_ci_u32_e32 v10, vcc_lo, 0, v14, vcc_lo
	v_add_co_u32 v8, vcc_lo, v9, v8
	v_add_co_ci_u32_e32 v9, vcc_lo, 0, v10, vcc_lo
	v_add_co_u32 v4, vcc_lo, v4, v8
	v_add_co_ci_u32_e32 v11, vcc_lo, v7, v9, vcc_lo
	v_mul_hi_u32 v13, v5, v4
	v_mad_u64_u32 v[9:10], null, v6, v4, 0
	v_mad_u64_u32 v[7:8], null, v5, v11, 0
	;; [unrolled: 1-line block ×3, first 2 shown]
	v_add_co_u32 v4, vcc_lo, v13, v7
	v_add_co_ci_u32_e32 v7, vcc_lo, 0, v8, vcc_lo
	v_add_co_u32 v4, vcc_lo, v4, v9
	v_add_co_ci_u32_e32 v4, vcc_lo, v7, v10, vcc_lo
	v_add_co_ci_u32_e32 v7, vcc_lo, 0, v12, vcc_lo
	v_add_co_u32 v4, vcc_lo, v4, v11
	v_add_co_ci_u32_e32 v9, vcc_lo, 0, v7, vcc_lo
	v_mul_lo_u32 v10, s21, v4
	v_mad_u64_u32 v[7:8], null, s20, v4, 0
	v_mul_lo_u32 v11, s20, v9
	v_sub_co_u32 v7, vcc_lo, v5, v7
	v_add3_u32 v8, v8, v11, v10
	v_sub_nc_u32_e32 v10, v6, v8
	v_subrev_co_ci_u32_e64 v10, s0, s21, v10, vcc_lo
	v_add_co_u32 v11, s0, v4, 2
	v_add_co_ci_u32_e64 v12, s0, 0, v9, s0
	v_sub_co_u32 v13, s0, v7, s20
	v_sub_co_ci_u32_e32 v8, vcc_lo, v6, v8, vcc_lo
	v_subrev_co_ci_u32_e64 v10, s0, 0, v10, s0
	v_cmp_le_u32_e32 vcc_lo, s20, v13
	v_cmp_eq_u32_e64 s0, s21, v8
	v_cndmask_b32_e64 v13, 0, -1, vcc_lo
	v_cmp_le_u32_e32 vcc_lo, s21, v10
	v_cndmask_b32_e64 v14, 0, -1, vcc_lo
	v_cmp_le_u32_e32 vcc_lo, s20, v7
	;; [unrolled: 2-line block ×3, first 2 shown]
	v_cndmask_b32_e64 v15, 0, -1, vcc_lo
	v_cmp_eq_u32_e32 vcc_lo, s21, v10
	v_cndmask_b32_e64 v7, v15, v7, s0
	v_cndmask_b32_e32 v10, v14, v13, vcc_lo
	v_add_co_u32 v13, vcc_lo, v4, 1
	v_add_co_ci_u32_e32 v14, vcc_lo, 0, v9, vcc_lo
	v_cmp_ne_u32_e32 vcc_lo, 0, v10
	v_cndmask_b32_e32 v8, v14, v12, vcc_lo
	v_cndmask_b32_e32 v10, v13, v11, vcc_lo
	v_cmp_ne_u32_e32 vcc_lo, 0, v7
	v_cndmask_b32_e32 v8, v9, v8, vcc_lo
	v_cndmask_b32_e32 v7, v4, v10, vcc_lo
.LBB0_4:                                ;   in Loop: Header=BB0_2 Depth=1
	s_andn2_saveexec_b32 s0, s1
	s_cbranch_execz .LBB0_6
; %bb.5:                                ;   in Loop: Header=BB0_2 Depth=1
	v_cvt_f32_u32_e32 v4, s20
	s_sub_i32 s1, 0, s20
	v_rcp_iflag_f32_e32 v4, v4
	v_mul_f32_e32 v4, 0x4f7ffffe, v4
	v_cvt_u32_f32_e32 v4, v4
	v_mul_lo_u32 v7, s1, v4
	v_mul_hi_u32 v7, v4, v7
	v_add_nc_u32_e32 v4, v4, v7
	v_mul_hi_u32 v4, v5, v4
	v_mul_lo_u32 v7, v4, s20
	v_add_nc_u32_e32 v8, 1, v4
	v_sub_nc_u32_e32 v7, v5, v7
	v_subrev_nc_u32_e32 v9, s20, v7
	v_cmp_le_u32_e32 vcc_lo, s20, v7
	v_cndmask_b32_e32 v7, v7, v9, vcc_lo
	v_cndmask_b32_e32 v4, v4, v8, vcc_lo
	v_cmp_le_u32_e32 vcc_lo, s20, v7
	v_add_nc_u32_e32 v8, 1, v4
	v_cndmask_b32_e32 v7, v4, v8, vcc_lo
	v_mov_b32_e32 v8, v3
.LBB0_6:                                ;   in Loop: Header=BB0_2 Depth=1
	s_or_b32 exec_lo, exec_lo, s0
	s_load_dwordx2 s[0:1], s[6:7], 0x0
	v_mul_lo_u32 v4, v8, s20
	v_mul_lo_u32 v11, v7, s21
	v_mad_u64_u32 v[9:10], null, v7, s20, 0
	s_add_u32 s18, s18, 1
	s_addc_u32 s19, s19, 0
	s_add_u32 s6, s6, 8
	s_addc_u32 s7, s7, 0
	;; [unrolled: 2-line block ×3, first 2 shown]
	v_add3_u32 v4, v10, v11, v4
	v_sub_co_u32 v5, vcc_lo, v5, v9
	v_sub_co_ci_u32_e32 v4, vcc_lo, v6, v4, vcc_lo
	s_waitcnt lgkmcnt(0)
	v_mul_lo_u32 v6, s1, v5
	v_mul_lo_u32 v4, s0, v4
	v_mad_u64_u32 v[1:2], null, s0, v5, v[1:2]
	v_cmp_ge_u64_e64 s0, s[18:19], s[10:11]
	s_and_b32 vcc_lo, exec_lo, s0
	v_add3_u32 v2, v6, v2, v4
	s_cbranch_vccnz .LBB0_9
; %bb.7:                                ;   in Loop: Header=BB0_2 Depth=1
	v_mov_b32_e32 v5, v7
	v_mov_b32_e32 v6, v8
	s_branch .LBB0_2
.LBB0_8:
	v_mov_b32_e32 v8, v6
	v_mov_b32_e32 v7, v5
.LBB0_9:
	s_lshl_b64 s[0:1], s[10:11], 3
	v_mul_hi_u32 v3, 0x1ac5702, v0
	s_add_u32 s0, s14, s0
	s_addc_u32 s1, s15, s1
                                        ; implicit-def: $vgpr24
                                        ; implicit-def: $vgpr28
                                        ; implicit-def: $vgpr23
                                        ; implicit-def: $vgpr29
                                        ; implicit-def: $vgpr22
                                        ; implicit-def: $vgpr30
                                        ; implicit-def: $vgpr21
                                        ; implicit-def: $vgpr26
                                        ; implicit-def: $vgpr20
                                        ; implicit-def: $vgpr27
                                        ; implicit-def: $vgpr19
                                        ; implicit-def: $vgpr25
                                        ; implicit-def: $vgpr18
                                        ; implicit-def: $vgpr15
                                        ; implicit-def: $vgpr17
                                        ; implicit-def: $vgpr6
                                        ; implicit-def: $vgpr31
                                        ; implicit-def: $vgpr16
                                        ; implicit-def: $vgpr32
                                        ; implicit-def: $vgpr14
                                        ; implicit-def: $vgpr33
                                        ; implicit-def: $vgpr13
                                        ; implicit-def: $vgpr34
                                        ; implicit-def: $vgpr12
                                        ; implicit-def: $vgpr35
                                        ; implicit-def: $vgpr11
                                        ; implicit-def: $vgpr36
                                        ; implicit-def: $vgpr10
                                        ; implicit-def: $vgpr37
                                        ; implicit-def: $vgpr38
	s_load_dwordx2 s[0:1], s[0:1], 0x0
	s_load_dwordx2 s[4:5], s[4:5], 0x20
	v_mul_u32_u24_e32 v3, 0x99, v3
	v_sub_nc_u32_e32 v9, v0, v3
	v_mov_b32_e32 v0, 0
	s_waitcnt lgkmcnt(0)
	v_mul_lo_u32 v4, s0, v8
	v_mul_lo_u32 v5, s1, v7
	v_mad_u64_u32 v[1:2], null, s0, v7, v[1:2]
	v_cmp_gt_u64_e32 vcc_lo, s[4:5], v[7:8]
	v_cmp_gt_u32_e64 s0, 0x75, v9
	v_mov_b32_e32 v7, 0
                                        ; implicit-def: $vgpr8
	s_and_b32 s1, vcc_lo, s0
	v_add3_u32 v2, v5, v2, v4
	v_lshlrev_b64 v[4:5], 2, v[1:2]
	s_and_saveexec_b32 s4, s1
	s_cbranch_execz .LBB0_11
; %bb.10:
	v_add_nc_u32_e32 v10, 0x75, v9
	v_mad_u64_u32 v[0:1], null, s2, v9, 0
	v_add_nc_u32_e32 v13, 0xea, v9
	v_add_nc_u32_e32 v15, 0x15f, v9
	v_mad_u64_u32 v[2:3], null, s2, v10, 0
	v_add_nc_u32_e32 v19, 0x249, v9
	v_add_nc_u32_e32 v21, 0x2be, v9
	v_add_nc_u32_e32 v24, 0x333, v9
	v_add_nc_u32_e32 v25, 0x3a8, v9
	v_add_co_u32 v35, s1, s12, v4
	v_mad_u64_u32 v[6:7], null, s3, v9, v[1:2]
	v_mad_u64_u32 v[7:8], null, s2, v13, 0
	;; [unrolled: 1-line block ×4, first 2 shown]
	v_mov_b32_e32 v1, v6
	v_add_co_ci_u32_e64 v36, s1, s13, v5, s1
	v_mov_b32_e32 v6, v8
	v_mov_b32_e32 v3, v10
	v_add_nc_u32_e32 v10, 0x1d4, v9
	v_lshlrev_b64 v[0:1], 2, v[0:1]
	v_add_nc_u32_e32 v26, 0x41d, v9
	v_mad_u64_u32 v[13:14], null, s3, v13, v[6:7]
	v_mov_b32_e32 v6, v12
	v_lshlrev_b64 v[2:3], 2, v[2:3]
	v_add_co_u32 v0, s1, v35, v0
	v_add_co_ci_u32_e64 v1, s1, v36, v1, s1
	v_mov_b32_e32 v8, v13
	v_mad_u64_u32 v[13:14], null, s2, v10, 0
	v_mad_u64_u32 v[15:16], null, s3, v15, v[6:7]
	v_lshlrev_b64 v[6:7], 2, v[7:8]
	v_add_co_u32 v2, s1, v35, v2
	v_mad_u64_u32 v[31:32], null, s2, v26, 0
	v_mov_b32_e32 v8, v14
	v_mov_b32_e32 v12, v15
	v_mad_u64_u32 v[15:16], null, s2, v19, 0
	v_add_co_ci_u32_e64 v3, s1, v36, v3, s1
	v_mad_u64_u32 v[17:18], null, s3, v10, v[8:9]
	v_lshlrev_b64 v[10:11], 2, v[11:12]
	v_add_co_u32 v6, s1, v35, v6
	v_mov_b32_e32 v8, v16
	v_add_co_ci_u32_e64 v7, s1, v36, v7, s1
	v_mov_b32_e32 v14, v17
	v_mad_u64_u32 v[17:18], null, s2, v21, 0
	v_mad_u64_u32 v[19:20], null, s3, v19, v[8:9]
	v_lshlrev_b64 v[12:13], 2, v[13:14]
	v_add_nc_u32_e32 v27, 0x492, v9
	v_add_co_u32 v10, s1, v35, v10
	v_mov_b32_e32 v8, v18
	v_add_co_ci_u32_e64 v11, s1, v36, v11, s1
	v_mov_b32_e32 v16, v19
	v_mad_u64_u32 v[19:20], null, s2, v24, 0
	v_mad_u64_u32 v[21:22], null, s3, v21, v[8:9]
	;; [unrolled: 1-line block ×3, first 2 shown]
	v_lshlrev_b64 v[14:15], 2, v[15:16]
	v_add_co_u32 v12, s1, v35, v12
	v_mov_b32_e32 v8, v20
	v_mov_b32_e32 v18, v21
	v_add_co_ci_u32_e64 v13, s1, v36, v13, s1
	v_add_co_u32 v14, s1, v35, v14
	v_mad_u64_u32 v[20:21], null, s3, v24, v[8:9]
	v_mov_b32_e32 v8, v23
	v_lshlrev_b64 v[16:17], 2, v[17:18]
	v_add_co_ci_u32_e64 v15, s1, v36, v15, s1
	v_add_nc_u32_e32 v37, 0x507, v9
	v_mad_u64_u32 v[23:24], null, s3, v25, v[8:9]
	v_mov_b32_e32 v8, v32
	v_lshlrev_b64 v[18:19], 2, v[19:20]
	v_mad_u64_u32 v[20:21], null, s2, v27, 0
	v_add_co_u32 v16, s1, v35, v16
	v_mad_u64_u32 v[24:25], null, s3, v26, v[8:9]
	v_lshlrev_b64 v[22:23], 2, v[22:23]
	v_add_co_ci_u32_e64 v17, s1, v36, v17, s1
	v_add_co_u32 v18, s1, v35, v18
	v_mov_b32_e32 v8, v21
	v_add_co_ci_u32_e64 v19, s1, v36, v19, s1
	v_mad_u64_u32 v[33:34], null, s2, v37, 0
	v_add_co_u32 v21, s1, v35, v22
	v_mov_b32_e32 v32, v24
	v_add_co_ci_u32_e64 v22, s1, v36, v23, s1
	v_mad_u64_u32 v[23:24], null, s3, v27, v[8:9]
	s_clause 0x8
	global_load_dword v0, v[0:1], off
	global_load_dword v28, v[2:3], off
	;; [unrolled: 1-line block ×9, first 2 shown]
	v_lshlrev_b64 v[2:3], 2, v[31:32]
	v_add_nc_u32_e32 v14, 0x57c, v9
	v_mov_b32_e32 v1, v34
	v_add_nc_u32_e32 v24, 0x666, v9
	v_mov_b32_e32 v21, v23
	v_mad_u64_u32 v[10:11], null, s2, v14, 0
	v_mad_u64_u32 v[7:8], null, s3, v37, v[1:2]
	v_lshlrev_b64 v[12:13], 2, v[20:21]
	v_add_nc_u32_e32 v21, 0x5f1, v9
	v_add_co_u32 v1, s1, v35, v2
	v_add_co_ci_u32_e64 v2, s1, v36, v3, s1
	v_mov_b32_e32 v3, v11
	v_mov_b32_e32 v34, v7
	v_mad_u64_u32 v[7:8], null, s2, v21, 0
	v_add_co_u32 v12, s1, v35, v12
	v_mad_u64_u32 v[16:17], null, s3, v14, v[3:4]
	v_mad_u64_u32 v[17:18], null, s2, v24, 0
	v_mov_b32_e32 v3, v8
	v_add_nc_u32_e32 v14, 0x6db, v9
	v_lshlrev_b64 v[19:20], 2, v[33:34]
	v_add_co_ci_u32_e64 v13, s1, v36, v13, s1
	v_mad_u64_u32 v[21:22], null, s3, v21, v[3:4]
	v_mov_b32_e32 v3, v18
	v_mov_b32_e32 v11, v16
	v_add_nc_u32_e32 v16, 0x750, v9
	v_mad_u64_u32 v[22:23], null, s2, v14, 0
	v_mad_u64_u32 v[31:32], null, s3, v24, v[3:4]
	;; [unrolled: 1-line block ×3, first 2 shown]
	v_mov_b32_e32 v8, v21
	v_lshlrev_b64 v[10:11], 2, v[10:11]
	v_mov_b32_e32 v3, v23
	v_add_co_u32 v19, s1, v35, v19
	v_mov_b32_e32 v18, v31
	v_lshlrev_b64 v[7:8], 2, v[7:8]
	v_mad_u64_u32 v[23:24], null, s3, v14, v[3:4]
	v_mov_b32_e32 v3, v33
	v_add_co_ci_u32_e64 v20, s1, v36, v20, s1
	v_add_co_u32 v10, s1, v35, v10
	v_mad_u64_u32 v[33:34], null, s3, v16, v[3:4]
	v_lshlrev_b64 v[16:17], 2, v[17:18]
	v_add_co_ci_u32_e64 v11, s1, v36, v11, s1
	v_add_co_u32 v7, s1, v35, v7
	v_lshlrev_b64 v[21:22], 2, v[22:23]
	v_add_co_ci_u32_e64 v8, s1, v36, v8, s1
	v_add_co_u32 v16, s1, v35, v16
	;; [unrolled: 3-line block ×3, first 2 shown]
	v_add_co_ci_u32_e64 v22, s1, v36, v22, s1
	v_add_co_u32 v23, s1, v35, v23
	v_add_co_ci_u32_e64 v24, s1, v36, v24, s1
	s_clause 0x7
	global_load_dword v32, v[12:13], off
	global_load_dword v33, v[19:20], off
	;; [unrolled: 1-line block ×8, first 2 shown]
	s_waitcnt vmcnt(15)
	v_lshrrev_b32_e32 v24, 16, v28
	s_waitcnt vmcnt(14)
	v_lshrrev_b32_e32 v23, 16, v29
	;; [unrolled: 2-line block ×15, first 2 shown]
	s_waitcnt vmcnt(0)
	v_perm_b32 v7, v0, v31, 0x7060302
.LBB0_11:
	s_or_b32 exec_lo, exec_lo, s4
	v_add_f16_e32 v60, v28, v38
	v_sub_f16_e32 v45, v24, v8
	v_add_f16_e32 v59, v29, v37
	v_sub_f16_e32 v46, v23, v10
	v_add_f16_e32 v62, v30, v36
	v_pk_mul_f16 v55, 0x3b7639e9, v60 op_sel_hi:[1,0]
	v_pk_mul_f16 v57, 0x37222de8, v60 op_sel_hi:[1,0]
	;; [unrolled: 1-line block ×4, first 2 shown]
	v_sub_f16_e32 v52, v22, v11
	v_pk_fma_f16 v1, 0xb5c8b964, v45, v55 op_sel_hi:[1,0,1]
	v_pk_fma_f16 v3, 0xbb29bbf7, v45, v57 op_sel_hi:[1,0,1]
	v_add_f16_e32 v61, v26, v35
	v_pk_mul_f16 v39, 0x3722b8d2, v62 op_sel_hi:[1,0]
	v_pk_fma_f16 v2, 0xb964bbf7, v46, v56 op_sel_hi:[1,0,1]
	v_pk_add_f16 v1, v0, v1 op_sel_hi:[0,1]
	v_pk_fma_f16 v41, 0xba62b1e1, v46, v54 op_sel_hi:[1,0,1]
	v_pk_add_f16 v3, v0, v3 op_sel_hi:[0,1]
	v_pk_mul_f16 v48, 0xbbddb461, v62 op_sel_hi:[1,0]
	v_sub_f16_e32 v53, v21, v12
	v_add_f16_e32 v64, v27, v34
	v_pk_mul_f16 v51, 0x2de8bbdd, v61 op_sel_hi:[1,0]
	v_pk_fma_f16 v40, 0xbb29ba62, v52, v39 op_sel_hi:[1,0,1]
	v_pk_add_f16 v2, v2, v1
	v_pk_add_f16 v3, v41, v3
	v_pk_fma_f16 v42, 0x31e13bb2, v52, v48 op_sel_hi:[1,0,1]
	v_pk_mul_f16 v41, 0xb4613b76, v61 op_sel_hi:[1,0]
	v_sub_f16_e32 v58, v20, v13
	v_add_f16_e32 v66, v25, v33
	v_pk_mul_f16 v1, 0xb461bacd, v64 op_sel_hi:[1,0]
	v_pk_fma_f16 v43, 0xbbf7b1e1, v53, v51 op_sel_hi:[1,0,1]
	v_pk_add_f16 v2, v40, v2
	v_pk_add_f16 v3, v42, v3
	v_pk_fma_f16 v47, 0x3bb235c8, v53, v41 op_sel_hi:[1,0,1]
	v_pk_mul_f16 v42, 0x39e93722, v64 op_sel_hi:[1,0]
	v_sub_f16_e32 v63, v19, v14
	v_pk_mul_f16 v40, 0xb8d2b461, v66 op_sel_hi:[1,0]
	v_pk_fma_f16 v44, 0xbbb23836, v58, v1 op_sel_hi:[1,0,1]
	v_pk_add_f16 v2, v43, v2
	v_add_f16_e32 v68, v15, v32
	v_pk_add_f16 v3, v47, v3
	v_pk_fma_f16 v50, 0x3964bb29, v58, v42 op_sel_hi:[1,0,1]
	v_pk_mul_f16 v43, 0x3b76bacd, v66 op_sel_hi:[1,0]
	v_pk_fma_f16 v49, 0xba623bb2, v63, v40 op_sel_hi:[1,0,1]
	v_pk_add_f16 v2, v44, v2
	v_sub_f16_e32 v65, v18, v16
	v_pk_mul_f16 v47, 0xbacd3722, v68 op_sel_hi:[1,0]
	v_pk_add_f16 v3, v50, v3
	v_pk_fma_f16 v50, 0xb5c8b836, v63, v43 op_sel_hi:[1,0,1]
	v_pk_mul_f16 v44, 0x2de8b8d2, v68 op_sel_hi:[1,0]
	v_add_f16_e32 v69, v6, v31
	v_pk_add_f16 v2, v49, v2
	v_pk_fma_f16 v70, 0xb8363b29, v65, v47 op_sel_hi:[1,0,1]
	v_pk_add_f16 v3, v50, v3
	v_pk_fma_f16 v71, 0xbbf73a62, v65, v44 op_sel_hi:[1,0,1]
	v_sub_f16_e32 v67, v17, v7
	v_pk_mul_f16 v50, 0xbbdd3b76, v69 op_sel_hi:[1,0]
	v_pk_mul_f16 v49, 0xbacd39e9, v69 op_sel_hi:[1,0]
	v_pk_add_f16 v2, v70, v2
	v_pk_add_f16 v70, v71, v3
	v_pk_fma_f16 v3, 0xb1e135c8, v67, v50 op_sel_hi:[1,0,1]
	v_pk_fma_f16 v71, 0xb8363964, v67, v49 op_sel_hi:[1,0,1]
	v_pk_add_f16 v3, v3, v2
	v_pk_add_f16 v2, v71, v70
	s_and_saveexec_b32 s1, s0
	s_cbranch_execz .LBB0_13
; %bb.12:
	v_pk_mul_f16 v72, 0xb5c8b964, v45 op_sel_hi:[1,0]
	v_add_f16_e32 v70, v0, v28
	v_perm_b32 v0, v0, v0, 0x5040100
	v_pk_mul_f16 v74, 0xb964bbf7, v46 op_sel_hi:[1,0]
	v_pk_mul_f16 v76, 0xbb29ba62, v52 op_sel_hi:[1,0]
	v_pk_add_f16 v55, v55, v72 neg_lo:[0,1] neg_hi:[0,1]
	v_pack_b32_f16 v71, v45, v45
	v_pk_mul_f16 v45, 0xbb29bbf7, v45 op_sel_hi:[1,0]
	v_pk_add_f16 v56, v56, v74 neg_lo:[0,1] neg_hi:[0,1]
	v_pack_b32_f16 v60, v60, v60
	v_pk_add_f16 v55, v0, v55
	v_pk_mul_f16 v78, 0xbbf7b1e1, v53 op_sel_hi:[1,0]
	v_pk_add_f16 v39, v39, v76 neg_lo:[0,1] neg_hi:[0,1]
	v_pack_b32_f16 v73, v46, v46
	v_pk_mul_f16 v46, 0xba62b1e1, v46 op_sel_hi:[1,0]
	v_pk_add_f16 v55, v56, v55
	v_pk_add_f16 v45, v57, v45 neg_lo:[0,1] neg_hi:[0,1]
	v_pack_b32_f16 v59, v59, v59
	v_pk_mul_f16 v57, 0xbbddbacd, v60
	v_pk_add_f16 v51, v51, v78 neg_lo:[0,1] neg_hi:[0,1]
	v_pk_add_f16 v39, v39, v55
	v_pk_mul_f16 v60, 0xb8d2b461, v60
	v_pack_b32_f16 v75, v52, v52
	v_pk_mul_f16 v52, 0x31e13bb2, v52 op_sel_hi:[1,0]
	v_pk_add_f16 v46, v54, v46 neg_lo:[0,1] neg_hi:[0,1]
	v_pk_add_f16 v45, v0, v45
	v_pack_b32_f16 v62, v62, v62
	v_pk_mul_f16 v80, 0xbbb23836, v58 op_sel_hi:[1,0]
	v_pk_mul_f16 v76, 0x3b763722, v59
	v_pk_mul_f16 v59, 0xb461bacd, v59
	v_pk_add_f16 v39, v51, v39
	v_pk_fma_f16 v51, 0xba62bbb2, v71, v60 neg_lo:[0,1,0] neg_hi:[0,1,0]
	v_pack_b32_f16 v77, v53, v53
	v_pk_mul_f16 v53, 0x3bb235c8, v53 op_sel_hi:[1,0]
	v_pk_add_f16 v45, v46, v45
	v_pk_add_f16 v48, v48, v52 neg_lo:[0,1] neg_hi:[0,1]
	v_add_f16_e32 v70, v70, v29
	v_pack_b32_f16 v61, v61, v61
	v_pk_mul_f16 v54, 0xbacd2de8, v62
	v_pk_mul_f16 v62, 0x3b7639e9, v62
	v_pk_add_f16 v51, v0, v51
	v_pk_add_f16 v1, v1, v80 neg_lo:[0,1] neg_hi:[0,1]
	v_pk_fma_f16 v80, 0x3bb23836, v73, v59 neg_lo:[0,1,0] neg_hi:[0,1,0]
	v_pack_b32_f16 v79, v58, v58
	v_pk_mul_f16 v82, 0xba623bb2, v63 op_sel_hi:[1,0]
	v_pk_mul_f16 v58, 0x3964bb29, v58 op_sel_hi:[1,0]
	v_pk_add_f16 v45, v48, v45
	v_pk_add_f16 v41, v41, v53 neg_lo:[0,1] neg_hi:[0,1]
	v_add_f16_e32 v70, v70, v30
	v_pack_b32_f16 v64, v64, v64
	v_pk_mul_f16 v56, 0x39e9b8d2, v61
	v_pk_mul_f16 v61, 0xbacd3722, v61
	v_pk_add_f16 v48, v80, v51
	v_pk_fma_f16 v51, 0xb5c83964, v75, v62 neg_lo:[0,1,0] neg_hi:[0,1,0]
	v_pack_b32_f16 v81, v63, v63
	v_pk_mul_f16 v84, 0xb8363b29, v65 op_sel_hi:[1,0]
	v_pk_mul_f16 v63, 0xb5c8b836, v63 op_sel_hi:[1,0]
	v_pk_add_f16 v1, v1, v39
	v_pk_add_f16 v39, v40, v82 neg_lo:[0,1] neg_hi:[0,1]
	v_pk_add_f16 v40, v41, v45
	v_pk_add_f16 v41, v42, v58 neg_lo:[0,1] neg_hi:[0,1]
	v_add_f16_e32 v70, v70, v26
	v_pack_b32_f16 v66, v66, v66
	v_pk_mul_f16 v78, 0xb8d23b76, v64
	v_pk_mul_f16 v64, 0x2de8bbdd, v64
	v_pk_add_f16 v42, v51, v48
	v_pk_fma_f16 v45, 0xb836bb29, v77, v61 neg_lo:[0,1,0] neg_hi:[0,1,0]
	v_pack_b32_f16 v83, v65, v65
	v_pk_mul_f16 v74, 0xb1e135c8, v67 op_sel_hi:[1,0]
	v_pk_mul_f16 v65, 0xbbf73a62, v65 op_sel_hi:[1,0]
	v_pk_add_f16 v1, v39, v1
	v_pk_add_f16 v39, v47, v84 neg_lo:[0,1] neg_hi:[0,1]
	v_pk_add_f16 v40, v41, v40
	v_pk_add_f16 v41, v43, v63 neg_lo:[0,1] neg_hi:[0,1]
	v_add_f16_e32 v70, v70, v27
	v_pack_b32_f16 v68, v68, v68
	v_pk_mul_f16 v55, 0x3722bbdd, v66
	v_pk_mul_f16 v66, 0x39e92de8, v66
	v_pk_add_f16 v42, v45, v42
	v_pk_fma_f16 v43, 0x3bf7b1e1, v79, v64 neg_lo:[0,1,0] neg_hi:[0,1,0]
	v_pack_b32_f16 v72, v67, v67
	v_pk_mul_f16 v67, 0xb8363964, v67 op_sel_hi:[1,0]
	v_pk_add_f16 v1, v39, v1
	v_pk_add_f16 v39, v50, v74 neg_lo:[0,1] neg_hi:[0,1]
	v_pk_add_f16 v40, v41, v40
	v_pk_add_f16 v41, v44, v65 neg_lo:[0,1] neg_hi:[0,1]
	v_add_f16_e32 v70, v70, v25
	v_pk_mul_f16 v46, 0xb46139e9, v68
	v_pk_mul_f16 v68, 0xbbdd3b76, v68
	v_pk_add_f16 v42, v43, v42
	v_pk_fma_f16 v43, 0xb9643bf7, v81, v66 neg_lo:[0,1,0] neg_hi:[0,1,0]
	v_pk_add_f16 v1, v39, v1
	v_pk_add_f16 v40, v41, v40
	v_pk_add_f16 v41, v49, v67 neg_lo:[0,1] neg_hi:[0,1]
	v_add_f16_e32 v70, v70, v15
	v_pk_add_f16 v42, v43, v42
	v_pk_fma_f16 v43, 0xb1e1b5c8, v83, v68 neg_lo:[0,1,0] neg_hi:[0,1,0]
	v_alignbit_b32 v39, v1, v1, 16
	v_pk_fma_f16 v1, 0xb1e1b836, v71, v57
	v_pk_add_f16 v40, v41, v40
	v_pk_fma_f16 v41, 0xba62bbb2, v71, v60
	v_add_f16_e32 v70, v70, v6
	v_pk_add_f16 v42, v43, v42
	v_pk_fma_f16 v43, 0xb1e1b836, v71, v57 neg_lo:[0,1,0] neg_hi:[0,1,0]
	v_pk_add_f16 v1, v0, v1
	v_pk_fma_f16 v45, 0x35c83b29, v73, v76
	v_pk_add_f16 v41, v0, v41
	v_pk_fma_f16 v47, 0x3bb23836, v73, v59
	v_add_f16_e32 v70, v70, v31
	v_pk_add_f16 v0, v0, v43
	v_pk_fma_f16 v43, 0x35c83b29, v73, v76 neg_lo:[0,1,0] neg_hi:[0,1,0]
	v_pk_add_f16 v1, v45, v1
	;; [unrolled: 7-line block ×4, first 2 shown]
	v_pk_fma_f16 v45, 0xba62b5c8, v79, v78
	v_pk_add_f16 v41, v47, v41
	v_pk_fma_f16 v47, 0x3bf7b1e1, v79, v64
	v_add_f16_e32 v70, v70, v34
	v_pk_add_f16 v0, v43, v0
	v_pk_fma_f16 v43, 0xba62b5c8, v79, v78 neg_lo:[0,1,0] neg_hi:[0,1,0]
	v_pack_b32_f16 v69, v69, v69
	v_pk_add_f16 v1, v45, v1
	v_pk_fma_f16 v45, 0x3b29b1e1, v81, v55
	v_pk_add_f16 v41, v47, v41
	v_pk_fma_f16 v47, 0xb9643bf7, v81, v66
	v_add_f16_e32 v70, v70, v35
	v_pk_add_f16 v0, v43, v0
	v_pk_fma_f16 v43, 0x3b29b1e1, v81, v55 neg_lo:[0,1,0] neg_hi:[0,1,0]
	v_pk_mul_f16 v52, 0x2de8b461, v69
	v_pk_mul_f16 v69, 0x3722b8d2, v69
	v_pk_add_f16 v1, v45, v1
	v_pk_fma_f16 v45, 0xbbb23964, v83, v46
	v_pk_add_f16 v41, v47, v41
	v_pk_fma_f16 v47, 0xb1e1b5c8, v83, v68
	v_add_f16_e32 v70, v70, v36
	v_pk_add_f16 v0, v43, v0
	v_pk_fma_f16 v43, 0xbbb23964, v83, v46 neg_lo:[0,1,0] neg_hi:[0,1,0]
	v_pk_add_f16 v1, v45, v1
	v_pk_fma_f16 v45, 0x3bf7bbb2, v72, v52
	v_pk_add_f16 v41, v47, v41
	v_pk_fma_f16 v46, 0x3b29ba62, v72, v69
	v_add_f16_e32 v70, v70, v37
	v_pk_fma_f16 v47, 0x3b29ba62, v72, v69 neg_lo:[0,1,0] neg_hi:[0,1,0]
	v_pk_add_f16 v0, v43, v0
	v_pk_fma_f16 v43, 0x3bf7bbb2, v72, v52 neg_lo:[0,1,0] neg_hi:[0,1,0]
	v_pk_add_f16 v1, v45, v1
	v_pk_add_f16 v45, v46, v41
	v_add_f16_e32 v70, v70, v38
	v_mad_u32_u24 v44, v9, 34, 0
	v_alignbit_b32 v40, v40, v40, 16
	v_pk_add_f16 v41, v47, v42
	v_pk_add_f16 v42, v43, v0
	v_alignbit_b32 v0, v1, v1, 16
	v_alignbit_b32 v1, v45, v45, 16
	ds_write_b16 v44, v70
	ds_write_b128 v44, v[39:42] offset:2
	ds_write_b128 v44, v[0:3] offset:18
.LBB0_13:
	s_or_b32 exec_lo, exec_lo, s1
	v_sub_f16_e32 v57, v28, v38
	v_add_f16_e32 v49, v24, v8
	v_sub_f16_e32 v56, v29, v37
	v_add_f16_e32 v50, v23, v10
	v_sub_f16_e32 v55, v30, v36
	v_pk_mul_f16 v53, 0xb5c8b964, v57 op_sel_hi:[1,0]
	v_pk_mul_f16 v45, 0xbb29bbf7, v57 op_sel_hi:[1,0]
	v_pk_mul_f16 v54, 0xb964bbf7, v56 op_sel_hi:[1,0]
	v_add_f16_e32 v46, v22, v11
	v_sub_f16_e32 v60, v26, v35
	v_pk_fma_f16 v0, 0x3b7639e9, v49, v53 op_sel_hi:[1,0,1] neg_lo:[0,0,1] neg_hi:[0,0,1]
	v_pk_mul_f16 v58, 0xbb29ba62, v55 op_sel_hi:[1,0]
	v_pk_fma_f16 v1, 0x39e92de8, v50, v54 op_sel_hi:[1,0,1] neg_lo:[0,0,1] neg_hi:[0,0,1]
	v_sub_f16_e32 v67, v15, v32
	v_pk_fma_f16 v15, 0x37222de8, v49, v45 op_sel_hi:[1,0,1] neg_lo:[0,0,1] neg_hi:[0,0,1]
	v_pk_add_f16 v0, v7, v0 op_sel:[1,0]
	v_pk_mul_f16 v37, 0xba62b1e1, v56 op_sel_hi:[1,0]
	v_add_f16_e32 v47, v21, v12
	v_sub_f16_e32 v59, v27, v34
	v_sub_f16_e32 v61, v25, v33
	v_pk_add_f16 v0, v1, v0
	v_pk_fma_f16 v1, 0x3722b8d2, v46, v58 op_sel_hi:[1,0,1] neg_lo:[0,0,1] neg_hi:[0,0,1]
	v_pk_mul_f16 v62, 0xbbf7b1e1, v60 op_sel_hi:[1,0]
	v_pk_add_f16 v15, v7, v15 op_sel:[1,0]
	v_pk_fma_f16 v25, 0xb8d2bbdd, v50, v37 op_sel_hi:[1,0,1] neg_lo:[0,0,1] neg_hi:[0,0,1]
	v_pk_mul_f16 v38, 0x31e13bb2, v55 op_sel_hi:[1,0]
	v_add_f16_e32 v52, v20, v13
	v_pk_add_f16 v0, v1, v0
	v_pk_fma_f16 v1, 0x2de8bbdd, v47, v62 op_sel_hi:[1,0,1] neg_lo:[0,0,1] neg_hi:[0,0,1]
	v_pk_mul_f16 v63, 0xbbb23836, v59 op_sel_hi:[1,0]
	v_pk_add_f16 v15, v25, v15
	v_pk_fma_f16 v25, 0xbbddb461, v46, v38 op_sel_hi:[1,0,1] neg_lo:[0,0,1] neg_hi:[0,0,1]
	v_pk_mul_f16 v39, 0x3bb235c8, v60 op_sel_hi:[1,0]
	v_add_f16_e32 v51, v19, v14
	v_pk_add_f16 v0, v1, v0
	v_pk_fma_f16 v1, 0xb461bacd, v52, v63 op_sel_hi:[1,0,1] neg_lo:[0,0,1] neg_hi:[0,0,1]
	v_pk_mul_f16 v66, 0xba623bb2, v61 op_sel_hi:[1,0]
	v_pk_add_f16 v15, v25, v15
	v_pk_fma_f16 v25, 0xb4613b76, v47, v39 op_sel_hi:[1,0,1] neg_lo:[0,0,1] neg_hi:[0,0,1]
	v_pk_mul_f16 v40, 0x3964bb29, v59 op_sel_hi:[1,0]
	v_pk_add_f16 v0, v1, v0
	v_pk_fma_f16 v1, 0xb8d2b461, v51, v66 op_sel_hi:[1,0,1] neg_lo:[0,0,1] neg_hi:[0,0,1]
	v_sub_f16_e32 v68, v6, v31
	v_pk_add_f16 v15, v25, v15
	v_pk_fma_f16 v25, 0x39e93722, v52, v40 op_sel_hi:[1,0,1] neg_lo:[0,0,1] neg_hi:[0,0,1]
	v_lshl_add_u32 v6, v9, 1, 0
	v_pk_add_f16 v0, v1, v0
	s_waitcnt lgkmcnt(0)
	s_barrier
	v_pk_add_f16 v1, v25, v15
	buffer_gl0_inv
	ds_read_u16 v15, v6
	ds_read_u16 v36, v6 offset:306
	ds_read_u16 v35, v6 offset:612
	ds_read_u16 v34, v6 offset:918
	ds_read_u16 v33, v6 offset:1224
	ds_read_u16 v32, v6 offset:1530
	ds_read_u16 v31, v6 offset:1836
	ds_read_u16 v30, v6 offset:2142
	ds_read_u16 v29, v6 offset:2448
	ds_read_u16 v28, v6 offset:2754
	ds_read_u16 v26, v6 offset:3060
	ds_read_u16 v25, v6 offset:3366
	ds_read_u16 v27, v6 offset:3672
	v_pk_mul_f16 v41, 0xb5c8b836, v61 op_sel_hi:[1,0]
	v_add_f16_e32 v44, v18, v16
	v_pk_mul_f16 v64, 0xb8363b29, v67 op_sel_hi:[1,0]
	v_pk_mul_f16 v42, 0xbbf73a62, v67 op_sel_hi:[1,0]
	v_add_f16_e32 v48, v17, v7
	v_pk_fma_f16 v43, 0x3b76bacd, v51, v41 op_sel_hi:[1,0,1] neg_lo:[0,0,1] neg_hi:[0,0,1]
	v_pk_mul_f16 v65, 0xb1e135c8, v68 op_sel_hi:[1,0]
	v_pk_fma_f16 v69, 0xbacd3722, v44, v64 op_sel_hi:[1,0,1] neg_lo:[0,0,1] neg_hi:[0,0,1]
	v_pk_fma_f16 v70, 0x2de8b8d2, v44, v42 op_sel_hi:[1,0,1] neg_lo:[0,0,1] neg_hi:[0,0,1]
	s_waitcnt lgkmcnt(0)
	v_pk_add_f16 v1, v43, v1
	v_pk_mul_f16 v43, 0xb8363964, v68 op_sel_hi:[1,0]
	v_pk_add_f16 v0, v69, v0
	v_pk_fma_f16 v69, 0xbbdd3b76, v48, v65 op_sel_hi:[1,0,1] neg_lo:[0,0,1] neg_hi:[0,0,1]
	s_barrier
	v_pk_add_f16 v70, v70, v1
	v_pk_fma_f16 v71, 0xbacd39e9, v48, v43 op_sel_hi:[1,0,1] neg_lo:[0,0,1] neg_hi:[0,0,1]
	buffer_gl0_inv
	v_pk_add_f16 v1, v69, v0
	v_pk_add_f16 v0, v71, v70
	s_and_saveexec_b32 s1, s0
	s_cbranch_execz .LBB0_15
; %bb.14:
	v_add_f16_sdwa v24, v7, v24 dst_sel:DWORD dst_unused:UNUSED_PAD src0_sel:WORD_1 src1_sel:DWORD
	v_pk_mul_f16 v70, 0x3b7639e9, v49 op_sel_hi:[1,0]
	v_pk_mul_f16 v72, 0x39e92de8, v50 op_sel_hi:[1,0]
	v_bfi_b32 v17, 0xffff, v17, v53
	v_pack_b32_f16 v57, v57, v57
	v_add_f16_e32 v23, v24, v23
	v_pk_mul_f16 v75, 0x2de8bbdd, v47 op_sel_hi:[1,0]
	v_pk_add_f16 v53, v72, v54
	v_pack_b32_f16 v69, v49, v49
	v_pack_b32_f16 v56, v56, v56
	v_add_f16_e32 v22, v23, v22
	v_pk_mul_f16 v23, 0x3722b8d2, v46 op_sel_hi:[1,0]
	v_bfi_b32 v16, 0xffff, v16, v53
	v_pk_mul_f16 v76, 0xb461bacd, v52 op_sel_hi:[1,0]
	v_pk_mul_f16 v77, 0xb8d2b461, v51 op_sel_hi:[1,0]
	v_add_f16_e32 v21, v22, v21
	v_pk_add_f16 v23, v23, v58
	v_pk_mul_f16 v58, 0xbb29b964, v57
	v_perm_b32 v71, v7, v7, 0x7060302
	v_pack_b32_f16 v24, v50, v50
	v_add_f16_e32 v20, v21, v20
	v_pack_b32_f16 v21, v51, v51
	v_bfi_b32 v14, 0xffff, v14, v23
	v_pack_b32_f16 v55, v55, v55
	v_pk_add_f16 v53, v76, v63
	v_add_f16_e32 v19, v20, v19
	v_pk_mul_f16 v20, 0xbacd3722, v44 op_sel_hi:[1,0]
	v_pk_fma_f16 v23, 0x372239e9, v69, v58
	v_pack_b32_f16 v73, v46, v46
	v_pack_b32_f16 v22, v60, v60
	v_add_f16_e32 v18, v19, v18
	v_pk_add_f16 v54, v77, v66
	v_bfi_b32 v12, 0xffff, v12, v53
	v_pk_add_f16 v23, v71, v23
	v_pack_b32_f16 v74, v47, v47
	v_bfi_b32 v18, 0xffff, v18, v70
	v_pack_b32_f16 v59, v59, v59
	v_pk_mul_f16 v80, 0xbbdd3b76, v48 op_sel_hi:[1,0]
	v_bfi_b32 v11, 0xffff, v11, v54
	v_pack_b32_f16 v60, v52, v52
	v_pk_add_f16 v17, v18, v17
	v_pk_mul_f16 v18, 0x3b76bacd, v51 op_sel_hi:[1,0]
	v_pk_add_f16 v51, v75, v62
	v_pack_b32_f16 v61, v61, v61
	v_pk_mul_f16 v49, 0x37222de8, v49 op_sel_hi:[1,0]
	v_pk_add_f16 v17, v17, v7
	v_pack_b32_f16 v67, v67, v67
	v_bfi_b32 v13, 0xffff, v13, v51
	v_pk_mul_f16 v50, 0xb8d2bbdd, v50 op_sel_hi:[1,0]
	v_pack_b32_f16 v78, v44, v44
	v_pk_add_f16 v16, v17, v16
	v_pk_add_f16 v17, v20, v64
	v_pk_mul_f16 v20, 0xba62bbf7, v56
	v_pk_mul_f16 v46, 0xbbddb461, v46 op_sel_hi:[1,0]
	v_pk_mul_f16 v47, 0xb4613b76, v47 op_sel_hi:[1,0]
	v_pk_add_f16 v14, v16, v14
	v_pk_mul_f16 v16, 0x31e1ba62, v55
	v_pk_fma_f16 v20, 0xb8d22de8, v24, v20
	v_bfi_b32 v10, 0xffff, v10, v17
	v_pk_add_f16 v17, v80, v65
	v_pk_add_f16 v13, v14, v13
	v_pk_mul_f16 v14, 0x3bb2b1e1, v22
	v_pk_fma_f16 v16, 0xbbddb8d2, v73, v16
	v_pk_add_f16 v20, v20, v23
	v_bfi_b32 v8, 0xffff, v8, v17
	v_pk_add_f16 v12, v13, v12
	v_pk_mul_f16 v13, 0x39643836, v59
	v_pk_fma_f16 v14, 0xb461bbdd, v74, v14
	v_pk_add_f16 v16, v16, v20
	v_add_f16_e32 v17, v49, v45
	v_pk_add_f16 v11, v12, v11
	v_pk_fma_f16 v13, 0x39e9bacd, v60, v13
	v_pack_b32_f16 v19, v68, v68
	v_pk_add_f16 v14, v14, v16
	v_add_f16_sdwa v7, v7, v17 dst_sel:DWORD dst_unused:UNUSED_PAD src0_sel:WORD_1 src1_sel:DWORD
	v_pk_add_f16 v10, v11, v10
	v_pk_mul_f16 v11, 0xb5c83bb2, v61
	v_pk_mul_f16 v17, 0x3bb23836, v56
	v_pk_add_f16 v13, v13, v14
	v_pk_mul_f16 v52, 0x39e93722, v52 op_sel_hi:[1,0]
	v_pk_add_f16 v16, v10, v8
	v_pk_fma_f16 v11, 0x3b76b461, v21, v11
	v_pk_mul_f16 v8, 0xba62bbb2, v57
	v_add_f16_e32 v10, v50, v37
	v_pk_fma_f16 v23, 0xb461bacd, v24, v17
	v_pk_mul_f16 v37, 0xb5c83964, v55
	v_pk_add_f16 v11, v11, v13
	v_pk_mul_f16 v13, 0xbbf73b29, v67
	v_pk_fma_f16 v14, 0xb8d2b461, v69, v8
	v_add_f16_e32 v7, v10, v7
	v_add_f16_e32 v10, v46, v38
	v_pack_b32_f16 v79, v48, v48
	v_pk_fma_f16 v13, 0x2de83722, v78, v13
	v_pk_add_f16 v14, v71, v14
	v_pk_mul_f16 v38, 0xb83635c8, v19
	v_add_f16_e32 v7, v10, v7
	v_add_f16_e32 v10, v47, v39
	v_pk_add_f16 v11, v13, v11
	v_pk_add_f16 v13, v23, v14
	v_pk_fma_f16 v14, 0x3b7639e9, v73, v37
	v_pk_mul_f16 v23, 0xb836bb29, v22
	v_add_f16_e32 v7, v10, v7
	v_add_f16_e32 v10, v52, v40
	v_pk_mul_f16 v39, 0x3bf7b1e1, v59
	v_pk_add_f16 v13, v14, v13
	v_pk_fma_f16 v14, 0xbacd3722, v74, v23
	v_pk_mul_f16 v12, 0x2de8b8d2, v44 op_sel_hi:[1,0]
	v_add_f16_e32 v7, v10, v7
	v_add_f16_e32 v10, v18, v41
	v_pk_fma_f16 v18, 0xbacd3b76, v79, v38
	v_pk_add_f16 v13, v14, v13
	v_pk_fma_f16 v14, 0x2de8bbdd, v60, v39
	v_pk_mul_f16 v38, 0xb9643bf7, v61
	v_pk_fma_f16 v8, 0xb8d2b461, v69, v8 neg_lo:[0,0,1] neg_hi:[0,0,1]
	v_add_f16_e32 v7, v10, v7
	v_add_f16_e32 v10, v12, v42
	v_pk_add_f16 v12, v14, v13
	v_pk_fma_f16 v13, 0x39e92de8, v21, v38
	v_pk_add_f16 v8, v71, v8
	v_pk_fma_f16 v40, 0xb461bacd, v24, v17 neg_lo:[0,0,1] neg_hi:[0,0,1]
	v_pk_mul_f16 v20, 0xbacd39e9, v48 op_sel_hi:[1,0]
	v_pk_add_f16 v17, v18, v11
	v_add_f16_e32 v7, v10, v7
	v_pk_add_f16 v10, v13, v12
	v_pk_add_f16 v8, v40, v8
	v_pk_fma_f16 v12, 0x3b7639e9, v73, v37 neg_lo:[0,0,1] neg_hi:[0,0,1]
	v_pk_mul_f16 v18, 0xb1e1b836, v57
	v_add_f16_e32 v13, v20, v43
	v_pk_mul_f16 v40, 0xb836bbf7, v55
	v_pk_mul_f16 v22, 0x39643a62, v22
	v_pk_add_f16 v8, v12, v8
	v_pk_fma_f16 v12, 0xbacd3722, v74, v23 neg_lo:[0,0,1] neg_hi:[0,0,1]
	v_pk_fma_f16 v20, 0xbbddbacd, v69, v18 neg_lo:[0,0,1] neg_hi:[0,0,1]
	v_pk_mul_f16 v23, 0x35c83b29, v56
	v_pk_fma_f16 v18, 0xbbddbacd, v69, v18
	v_pk_mul_f16 v14, 0xb1e1b5c8, v67
	v_pk_add_f16 v8, v12, v8
	v_pk_add_f16 v12, v71, v20
	v_pk_fma_f16 v20, 0x3b763722, v24, v23 neg_lo:[0,0,1] neg_hi:[0,0,1]
	v_pk_add_f16 v18, v71, v18
	v_pk_fma_f16 v23, 0x3b763722, v24, v23
	v_pk_fma_f16 v24, 0x2de8bbdd, v60, v39 neg_lo:[0,0,1] neg_hi:[0,0,1]
	v_pk_fma_f16 v11, 0xbbdd3b76, v78, v14
	v_pk_add_f16 v12, v20, v12
	v_pk_fma_f16 v20, 0xbacd2de8, v73, v40 neg_lo:[0,0,1] neg_hi:[0,0,1]
	v_pk_add_f16 v18, v23, v18
	v_pk_fma_f16 v23, 0xbacd2de8, v73, v40
	v_pk_add_f16 v8, v24, v8
	v_pk_mul_f16 v24, 0xba62b5c8, v59
	v_pk_add_f16 v12, v20, v12
	v_pk_fma_f16 v20, 0x39e9b8d2, v74, v22 neg_lo:[0,0,1] neg_hi:[0,0,1]
	v_pk_add_f16 v18, v23, v18
	v_pk_fma_f16 v22, 0x39e9b8d2, v74, v22
	v_pk_fma_f16 v23, 0x39e92de8, v21, v38 neg_lo:[0,0,1] neg_hi:[0,0,1]
	v_pk_mul_f16 v38, 0x3b29b1e1, v61
	v_pk_add_f16 v12, v20, v12
	v_pk_fma_f16 v20, 0xb8d23b76, v60, v24 neg_lo:[0,0,1] neg_hi:[0,0,1]
	v_pk_add_f16 v18, v22, v18
	v_pk_fma_f16 v22, 0xb8d23b76, v60, v24
	v_pk_add_f16 v8, v23, v8
	v_pk_mul_f16 v23, 0xbbb23964, v67
	v_pk_add_f16 v12, v20, v12
	v_pk_fma_f16 v20, 0x3722bbdd, v21, v38 neg_lo:[0,0,1] neg_hi:[0,0,1]
	v_pk_add_f16 v10, v11, v10
	v_pk_mul_f16 v11, 0x3b29ba62, v19
	v_pk_add_f16 v18, v22, v18
	v_pk_fma_f16 v21, 0x3722bbdd, v21, v38
	v_pk_fma_f16 v14, 0xbbdd3b76, v78, v14 neg_lo:[0,0,1] neg_hi:[0,0,1]
	v_pk_add_f16 v12, v20, v12
	v_pk_fma_f16 v20, 0xb46139e9, v78, v23 neg_lo:[0,0,1] neg_hi:[0,0,1]
	v_pk_mul_f16 v19, 0x3bf7bbb2, v19
	v_pk_fma_f16 v37, 0x3722b8d2, v79, v11
	v_pk_add_f16 v18, v21, v18
	v_pk_fma_f16 v21, 0xb46139e9, v78, v23
	v_pk_add_f16 v8, v14, v8
	v_pk_add_f16 v12, v20, v12
	v_pk_fma_f16 v14, 0x2de8b461, v79, v19 neg_lo:[0,0,1] neg_hi:[0,0,1]
	v_pk_fma_f16 v11, 0x3722b8d2, v79, v11 neg_lo:[0,0,1] neg_hi:[0,0,1]
	v_pk_add_f16 v18, v21, v18
	v_pk_fma_f16 v19, 0x2de8b461, v79, v19
	v_add_f16_e32 v7, v13, v7
	v_pk_add_f16 v12, v14, v12
	v_pk_add_f16 v8, v11, v8
	v_lshl_add_u32 v14, v9, 5, v6
	v_pk_add_f16 v10, v37, v10
	v_pk_add_f16 v11, v19, v18
	v_alignbit_b32 v12, v12, v12, 16
	v_alignbit_b32 v13, v8, v8, 16
	ds_write_b64 v14, v[16:17]
	ds_write_b16 v14, v7 offset:8
	ds_write_b128 v14, v[10:13] offset:10
	ds_write_b64 v14, v[0:1] offset:26
.LBB0_15:
	s_or_b32 exec_lo, exec_lo, s1
	v_and_b32_e32 v7, 0xff, v9
	v_mov_b32_e32 v10, 12
	s_waitcnt lgkmcnt(0)
	s_barrier
	buffer_gl0_inv
	v_mul_lo_u16 v7, 0xf1, v7
	v_mov_b32_e32 v12, 0x1ba
	v_mov_b32_e32 v13, 1
	v_cmp_gt_u32_e64 s0, 0x44, v9
	v_lshrrev_b16 v8, 12, v7
	v_mul_lo_u16 v7, v8, 17
	v_mul_u32_u24_sdwa v8, v8, v12 dst_sel:DWORD dst_unused:UNUSED_PAD src0_sel:WORD_0 src1_sel:DWORD
	v_sub_nc_u16 v11, v9, v7
	v_mul_u32_u24_sdwa v7, v11, v10 dst_sel:DWORD dst_unused:UNUSED_PAD src0_sel:BYTE_0 src1_sel:DWORD
	v_lshlrev_b32_sdwa v11, v13, v11 dst_sel:DWORD dst_unused:UNUSED_PAD src0_sel:DWORD src1_sel:BYTE_0
	v_lshlrev_b32_e32 v7, 2, v7
	v_add3_u32 v16, 0, v8, v11
	s_clause 0x2
	global_load_dwordx4 v[17:20], v7, s[8:9]
	global_load_dwordx4 v[21:24], v7, s[8:9] offset:16
	global_load_dwordx4 v[47:50], v7, s[8:9] offset:32
	ds_read_u16 v7, v6
	ds_read_u16 v10, v6 offset:306
	ds_read_u16 v14, v6 offset:612
	;; [unrolled: 1-line block ×12, first 2 shown]
	s_waitcnt vmcnt(0) lgkmcnt(0)
	s_barrier
	buffer_gl0_inv
	v_mul_f16_sdwa v8, v10, v17 dst_sel:DWORD dst_unused:UNUSED_PAD src0_sel:DWORD src1_sel:WORD_1
	v_mul_f16_sdwa v46, v36, v17 dst_sel:DWORD dst_unused:UNUSED_PAD src0_sel:DWORD src1_sel:WORD_1
	;; [unrolled: 1-line block ×5, first 2 shown]
	v_fma_f16 v36, v36, v17, -v8
	v_mul_f16_sdwa v61, v51, v19 dst_sel:DWORD dst_unused:UNUSED_PAD src0_sel:DWORD src1_sel:WORD_1
	v_mul_f16_sdwa v44, v34, v19 dst_sel:DWORD dst_unused:UNUSED_PAD src0_sel:DWORD src1_sel:WORD_1
	;; [unrolled: 1-line block ×12, first 2 shown]
	v_fmac_f16_e32 v46, v10, v17
	v_fma_f16 v35, v35, v18, -v11
	v_fmac_f16_e32 v39, v60, v50
	v_add_f16_e32 v8, v15, v36
	v_mul_f16_sdwa v62, v52, v20 dst_sel:DWORD dst_unused:UNUSED_PAD src0_sel:DWORD src1_sel:WORD_1
	v_mul_f16_sdwa v63, v53, v21 dst_sel:DWORD dst_unused:UNUSED_PAD src0_sel:DWORD src1_sel:WORD_1
	;; [unrolled: 1-line block ×7, first 2 shown]
	v_fmac_f16_e32 v45, v14, v18
	v_fma_f16 v34, v34, v19, -v61
	v_fmac_f16_e32 v44, v51, v19
	v_fmac_f16_e32 v43, v52, v20
	;; [unrolled: 1-line block ×3, first 2 shown]
	v_fma_f16 v14, v31, v22, -v64
	v_fmac_f16_e32 v12, v54, v22
	v_fmac_f16_e32 v13, v55, v23
	;; [unrolled: 1-line block ×5, first 2 shown]
	v_fma_f16 v31, v27, v50, -v70
	v_fmac_f16_e32 v40, v59, v49
	v_sub_f16_e32 v11, v46, v39
	v_add_f16_e32 v8, v8, v35
	v_fma_f16 v33, v33, v20, -v62
	v_fma_f16 v32, v32, v21, -v63
	;; [unrolled: 1-line block ×7, first 2 shown]
	v_add_f16_e32 v10, v36, v31
	v_sub_f16_e32 v18, v45, v40
	v_sub_f16_e32 v20, v44, v41
	;; [unrolled: 1-line block ×5, first 2 shown]
	v_mul_f16_e32 v48, 0xb94e, v11
	v_mul_f16_e32 v49, 0xb3a8, v11
	v_pk_mul_f16 v58, 0xb770ba95, v11 op_sel_hi:[1,0]
	v_pk_mul_f16 v11, 0xbb7bbbf1, v11 op_sel_hi:[1,0]
	v_add_f16_e32 v8, v8, v34
	v_add_f16_e32 v17, v35, v27
	;; [unrolled: 1-line block ×6, first 2 shown]
	v_mul_f16_e32 v50, 0x3bf1, v18
	v_mul_f16_e32 v51, 0x3770, v18
	;; [unrolled: 1-line block ×8, first 2 shown]
	v_pk_mul_f16 v59, 0xba95bb7b, v18 op_sel_hi:[1,0]
	v_pk_mul_f16 v60, 0xbbf1b3a8, v20 op_sel_hi:[1,0]
	;; [unrolled: 1-line block ×10, first 2 shown]
	v_mul_f16_e32 v65, 0xbb7b, v47
	v_mul_f16_e32 v47, 0x3bf1, v47
	v_fma_f16 v66, v10, 0xb9fd, -v48
	v_fmac_f16_e32 v48, 0xb9fd, v10
	v_fma_f16 v67, v10, 0xbbc4, -v49
	v_fmac_f16_e32 v49, 0xbbc4, v10
	v_pk_fma_f16 v76, 0x3b15388b, v10, v58 op_sel_hi:[1,0,1] neg_lo:[0,0,1] neg_hi:[0,0,1]
	v_pk_fma_f16 v58, 0x3b15388b, v10, v58 op_sel_hi:[1,0,1]
	v_pk_fma_f16 v82, 0xb5ac2fb7, v10, v11 op_sel_hi:[1,0,1] neg_lo:[0,0,1] neg_hi:[0,0,1]
	v_pk_fma_f16 v10, 0xb5ac2fb7, v10, v11 op_sel_hi:[1,0,1]
	v_add_f16_e32 v8, v8, v33
	v_fma_f16 v68, v17, 0x2fb7, -v50
	v_fmac_f16_e32 v50, 0x2fb7, v17
	v_fma_f16 v69, v17, 0x3b15, -v51
	v_fmac_f16_e32 v51, 0x3b15, v17
	v_fma_f16 v70, v19, 0x388b, -v52
	v_fmac_f16_e32 v52, 0x388b, v19
	v_fma_f16 v71, v19, 0xb9fd, -v53
	v_fmac_f16_e32 v53, 0xb9fd, v19
	v_fma_f16 v72, v21, 0xbbc4, -v54
	v_fmac_f16_e32 v54, 0xbbc4, v21
	v_fma_f16 v73, v21, 0x388b, -v55
	v_fmac_f16_e32 v55, 0x388b, v21
	v_fma_f16 v74, v23, 0x3b15, -v56
	v_fmac_f16_e32 v56, 0x3b15, v23
	v_fma_f16 v75, v23, 0xb5ac, -v57
	v_fmac_f16_e32 v57, 0xb5ac, v23
	v_pk_fma_f16 v77, 0x388bb5ac, v17, v59 op_sel_hi:[1,0,1] neg_lo:[0,0,1] neg_hi:[0,0,1]
	v_pk_fma_f16 v59, 0x388bb5ac, v17, v59 op_sel_hi:[1,0,1]
	v_pk_fma_f16 v78, 0x2fb7bbc4, v19, v60 op_sel_hi:[1,0,1] neg_lo:[0,0,1] neg_hi:[0,0,1]
	v_pk_fma_f16 v60, 0x2fb7bbc4, v19, v60 op_sel_hi:[1,0,1]
	;; [unrolled: 2-line block ×10, first 2 shown]
	v_fma_f16 v83, v25, 0xb5ac, -v65
	v_fmac_f16_e32 v65, 0xb5ac, v25
	v_fma_f16 v84, v25, 0x2fb7, -v47
	v_fmac_f16_e32 v47, 0x2fb7, v25
	v_add_f16_e32 v25, v15, v66
	v_add_f16_e32 v48, v15, v48
	;; [unrolled: 1-line block ×4, first 2 shown]
	v_add_f16_sdwa v67, v15, v76 dst_sel:DWORD dst_unused:UNUSED_PAD src0_sel:DWORD src1_sel:WORD_1
	v_add_f16_e32 v76, v15, v76
	v_pk_add_f16 v58, v15, v58 op_sel_hi:[0,1]
	v_add_f16_e32 v85, v15, v82
	v_add_f16_sdwa v82, v15, v82 dst_sel:DWORD dst_unused:UNUSED_PAD src0_sel:DWORD src1_sel:WORD_1
	v_pk_add_f16 v10, v15, v10 op_sel_hi:[0,1]
	v_add_f16_e32 v8, v8, v32
	v_add_f16_e32 v15, v68, v25
	v_add_f16_e32 v25, v50, v48
	v_add_f16_e32 v48, v69, v66
	v_add_f16_e32 v49, v51, v49
	v_add_f16_sdwa v50, v77, v67 dst_sel:DWORD dst_unused:UNUSED_PAD src0_sel:WORD_1 src1_sel:DWORD
	v_add_f16_e32 v51, v77, v76
	v_pk_add_f16 v58, v59, v58
	v_add_f16_e32 v59, v11, v85
	v_add_f16_sdwa v11, v11, v82 dst_sel:DWORD dst_unused:UNUSED_PAD src0_sel:WORD_1 src1_sel:DWORD
	v_pk_add_f16 v10, v17, v10
	v_add_f16_e32 v8, v8, v14
	v_add_f16_e32 v17, v52, v25
	;; [unrolled: 1-line block ×4, first 2 shown]
	v_add_f16_sdwa v49, v78, v50 dst_sel:DWORD dst_unused:UNUSED_PAD src0_sel:WORD_1 src1_sel:DWORD
	v_add_f16_e32 v50, v78, v51
	v_add_f16_e32 v52, v18, v59
	v_add_f16_sdwa v11, v18, v11 dst_sel:DWORD dst_unused:UNUSED_PAD src0_sel:WORD_1 src1_sel:DWORD
	v_pk_add_f16 v10, v19, v10
	v_add_f16_e32 v8, v8, v30
	v_pk_add_f16 v51, v60, v58
	v_add_f16_e32 v18, v73, v25
	v_add_f16_e32 v19, v55, v48
	v_add_f16_sdwa v25, v79, v49 dst_sel:DWORD dst_unused:UNUSED_PAD src0_sel:WORD_1 src1_sel:DWORD
	v_add_f16_e32 v48, v79, v50
	v_add_f16_e32 v50, v20, v52
	v_add_f16_sdwa v11, v20, v11 dst_sel:DWORD dst_unused:UNUSED_PAD src0_sel:WORD_1 src1_sel:DWORD
	v_pk_add_f16 v10, v21, v10
	v_add_f16_e32 v8, v8, v29
	v_add_f16_e32 v15, v70, v15
	v_pk_add_f16 v49, v61, v51
	v_add_f16_sdwa v20, v80, v25 dst_sel:DWORD dst_unused:UNUSED_PAD src0_sel:WORD_1 src1_sel:DWORD
	v_add_f16_e32 v21, v80, v48
	v_add_f16_e32 v48, v22, v50
	v_add_f16_sdwa v11, v22, v11 dst_sel:DWORD dst_unused:UNUSED_PAD src0_sel:WORD_1 src1_sel:DWORD
	v_pk_add_f16 v22, v23, v10
	v_add_f16_e32 v23, v8, v28
	v_add_f16_e32 v15, v72, v15
	v_pk_add_f16 v25, v62, v49
	v_add_f16_e32 v17, v54, v17
	v_add_f16_sdwa v20, v81, v20 dst_sel:DWORD dst_unused:UNUSED_PAD src0_sel:WORD_1 src1_sel:DWORD
	v_pk_add_f16 v8, v64, v22
	v_add_f16_e32 v22, v23, v26
	v_add_f16_e32 v15, v74, v15
	;; [unrolled: 1-line block ×4, first 2 shown]
	v_pk_add_f16 v10, v63, v25
	v_add_f16_e32 v25, v24, v48
	v_add_f16_e32 v19, v57, v19
	v_add_f16_sdwa v11, v24, v11 dst_sel:DWORD dst_unused:UNUSED_PAD src0_sel:WORD_1 src1_sel:DWORD
	v_add_f16_e32 v17, v56, v17
	ds_write_b16 v16, v20 offset:34
	ds_write_b16 v16, v21 offset:68
	;; [unrolled: 1-line block ×4, first 2 shown]
	v_add_f16_e32 v11, v22, v27
	v_add_f16_e32 v15, v83, v15
	;; [unrolled: 1-line block ×6, first 2 shown]
	ds_write_b16 v16, v15 offset:170
	ds_write_b16 v16, v18 offset:204
	;; [unrolled: 1-line block ×4, first 2 shown]
	ds_write_b16_d16_hi v16, v8 offset:306
	ds_write_b16 v16, v8 offset:340
	ds_write_b16 v16, v10 offset:374
	ds_write_b16_d16_hi v16, v10 offset:408
	ds_write_b16 v16, v11
	s_waitcnt lgkmcnt(0)
	s_barrier
	buffer_gl0_inv
	ds_read_u16 v17, v6
	ds_read_u16 v18, v6 offset:442
	ds_read_u16 v20, v6 offset:884
	;; [unrolled: 1-line block ×8, first 2 shown]
                                        ; implicit-def: $vgpr11
	s_and_saveexec_b32 s1, s0
	s_cbranch_execz .LBB0_17
; %bb.16:
	ds_read_u16 v8, v6 offset:748
	ds_read_u16 v2, v6 offset:2074
	;; [unrolled: 1-line block ×5, first 2 shown]
	s_waitcnt lgkmcnt(4)
	ds_read_u16_d16_hi v8, v6 offset:306
	s_waitcnt lgkmcnt(4)
	ds_read_u16_d16_hi v2, v6 offset:2516
	;; [unrolled: 2-line block ×4, first 2 shown]
.LBB0_17:
	s_or_b32 exec_lo, exec_lo, s1
	v_add_f16_e32 v15, v7, v46
	v_sub_f16_e32 v31, v36, v31
	v_add_f16_e32 v46, v46, v39
	v_sub_f16_e32 v27, v35, v27
	v_sub_f16_e32 v29, v32, v29
	v_add_f16_e32 v15, v15, v45
	v_mul_f16_e32 v32, 0xb94e, v31
	v_add_f16_e32 v36, v45, v40
	v_add_f16_e32 v35, v44, v41
	v_sub_f16_e32 v26, v34, v26
	v_add_f16_e32 v15, v15, v44
	v_sub_f16_e32 v28, v33, v28
	v_mul_f16_e32 v33, 0xb3a8, v31
	v_mul_f16_e32 v44, 0x3bf1, v27
	v_fmamk_f16 v50, v46, 0xb9fd, v32
	v_add_f16_e32 v15, v15, v43
	v_add_f16_e32 v34, v43, v42
	v_mul_f16_e32 v43, 0x3770, v27
	v_mul_f16_e32 v45, 0xba95, v26
	v_fmamk_f16 v51, v46, 0xbbc4, v33
	v_add_f16_e32 v15, v15, v37
	v_fma_f16 v33, v46, 0xbbc4, -v33
	v_fmamk_f16 v52, v36, 0x2fb7, v44
	v_add_f16_e32 v50, v7, v50
	v_mul_f16_e32 v47, 0xb94e, v26
	v_add_f16_e32 v15, v15, v12
	v_mul_f16_e32 v48, 0x33a8, v28
	v_fma_f16 v32, v46, 0xb9fd, -v32
	v_fmamk_f16 v53, v36, 0x3b15, v43
	v_fma_f16 v43, v36, 0x3b15, -v43
	v_add_f16_e32 v15, v15, v13
	v_fmamk_f16 v54, v35, 0x388b, v45
	v_add_f16_e32 v33, v7, v33
	v_add_f16_e32 v50, v52, v50
	v_mul_f16_e32 v49, 0x3a95, v28
	v_add_f16_e32 v15, v15, v38
	v_fma_f16 v44, v36, 0x2fb7, -v44
	v_fmamk_f16 v55, v35, 0xb9fd, v47
	v_fma_f16 v47, v35, 0xb9fd, -v47
	v_fmamk_f16 v56, v34, 0xbbc4, v48
	v_add_f16_e32 v15, v15, v42
	v_add_f16_e32 v42, v7, v51
	;; [unrolled: 1-line block ×4, first 2 shown]
	v_fma_f16 v45, v35, 0x388b, -v45
	v_add_f16_e32 v15, v15, v41
	v_add_f16_e32 v41, v53, v42
	;; [unrolled: 1-line block ×9, first 2 shown]
	v_mul_f16_e32 v38, 0x3770, v29
	v_add_f16_e32 v15, v15, v39
	v_fmamk_f16 v39, v34, 0x388b, v49
	v_fma_f16 v42, v34, 0x388b, -v49
	v_fma_f16 v48, v34, 0xbbc4, -v48
	v_add_f16_e32 v32, v45, v32
	v_fmamk_f16 v43, v37, 0x3b15, v38
	v_add_f16_e32 v39, v39, v40
	v_pk_mul_f16 v40, 0xb770ba95, v31 op_sel_hi:[1,0]
	v_add_f16_e32 v33, v42, v33
	v_mul_f16_e32 v42, 0xbb7b, v29
	v_add_f16_e32 v32, v48, v32
	v_fma_f16 v38, v37, 0x3b15, -v38
	v_pk_fma_f16 v44, 0x3b15388b, v46, v40 op_sel_hi:[1,0,1]
	v_add_f16_e32 v41, v43, v41
	v_pk_mul_f16 v43, 0xba95bb7b, v27 op_sel_hi:[1,0]
	v_fmamk_f16 v45, v37, 0xb5ac, v42
	v_pk_fma_f16 v40, 0x3b15388b, v46, v40 op_sel_hi:[1,0,1] neg_lo:[0,0,1] neg_hi:[0,0,1]
	v_add_f16_e32 v32, v38, v32
	v_add_f16_sdwa v38, v7, v44 dst_sel:DWORD dst_unused:UNUSED_PAD src0_sel:DWORD src1_sel:WORD_1
	v_pk_fma_f16 v47, 0x388bb5ac, v36, v43 op_sel_hi:[1,0,1]
	v_add_f16_e32 v39, v45, v39
	v_pk_mul_f16 v45, 0xbbf1b3a8, v26 op_sel_hi:[1,0]
	v_add_f16_e32 v44, v7, v44
	v_pk_add_f16 v40, v7, v40 op_sel_hi:[0,1]
	v_pk_fma_f16 v43, 0x388bb5ac, v36, v43 op_sel_hi:[1,0,1] neg_lo:[0,0,1] neg_hi:[0,0,1]
	v_add_f16_sdwa v38, v47, v38 dst_sel:DWORD dst_unused:UNUSED_PAD src0_sel:WORD_1 src1_sel:DWORD
	v_pk_fma_f16 v48, 0x2fb7bbc4, v35, v45 op_sel_hi:[1,0,1]
	v_pk_mul_f16 v49, 0xbb7b394e, v28 op_sel_hi:[1,0]
	v_add_f16_e32 v44, v47, v44
	v_pk_add_f16 v40, v43, v40
	v_pk_fma_f16 v43, 0x2fb7bbc4, v35, v45 op_sel_hi:[1,0,1] neg_lo:[0,0,1] neg_hi:[0,0,1]
	v_add_f16_sdwa v38, v48, v38 dst_sel:DWORD dst_unused:UNUSED_PAD src0_sel:WORD_1 src1_sel:DWORD
	v_pk_fma_f16 v45, 0xb5acb9fd, v34, v49 op_sel_hi:[1,0,1]
	v_sub_f16_e32 v14, v14, v30
	v_pk_mul_f16 v30, 0xb94e3bf1, v29 op_sel_hi:[1,0]
	v_add_f16_e32 v44, v48, v44
	v_pk_add_f16 v40, v43, v40
	v_pk_fma_f16 v43, 0xb5acb9fd, v34, v49 op_sel_hi:[1,0,1] neg_lo:[0,0,1] neg_hi:[0,0,1]
	v_fma_f16 v42, v37, 0xb5ac, -v42
	v_add_f16_sdwa v38, v45, v38 dst_sel:DWORD dst_unused:UNUSED_PAD src0_sel:WORD_1 src1_sel:DWORD
	v_pk_fma_f16 v47, 0xb9fd2fb7, v37, v30 op_sel_hi:[1,0,1]
	v_add_f16_e32 v12, v12, v13
	v_pk_mul_f16 v13, 0xb3a83770, v14 op_sel_hi:[1,0]
	v_add_f16_e32 v44, v45, v44
	v_pk_add_f16 v40, v43, v40
	v_pk_fma_f16 v30, 0xb9fd2fb7, v37, v30 op_sel_hi:[1,0,1] neg_lo:[0,0,1] neg_hi:[0,0,1]
	v_pk_mul_f16 v31, 0xbb7bbbf1, v31 op_sel_hi:[1,0]
	v_add_f16_sdwa v38, v47, v38 dst_sel:DWORD dst_unused:UNUSED_PAD src0_sel:WORD_1 src1_sel:DWORD
	v_pk_fma_f16 v43, 0xbbc43b15, v12, v13 op_sel_hi:[1,0,1]
	v_add_f16_e32 v33, v42, v33
	v_add_f16_e32 v42, v47, v44
	v_pk_add_f16 v30, v30, v40
	v_pk_fma_f16 v40, 0xb5ac2fb7, v46, v31 op_sel_hi:[1,0,1]
	v_pk_mul_f16 v27, 0x394eb3a8, v27 op_sel_hi:[1,0]
	v_pk_fma_f16 v31, 0xb5ac2fb7, v46, v31 op_sel_hi:[1,0,1] neg_lo:[0,0,1] neg_hi:[0,0,1]
	v_add_f16_sdwa v38, v43, v38 dst_sel:DWORD dst_unused:UNUSED_PAD src0_sel:WORD_1 src1_sel:DWORD
	v_add_f16_e32 v42, v43, v42
	v_add_f16_e32 v43, v7, v40
	v_pk_fma_f16 v44, 0xb9fdbbc4, v36, v27 op_sel_hi:[1,0,1]
	v_pk_mul_f16 v26, 0x37703b7b, v26 op_sel_hi:[1,0]
	v_add_f16_sdwa v40, v7, v40 dst_sel:DWORD dst_unused:UNUSED_PAD src0_sel:DWORD src1_sel:WORD_1
	v_pk_add_f16 v7, v7, v31 op_sel_hi:[0,1]
	v_pk_fma_f16 v27, 0xb9fdbbc4, v36, v27 op_sel_hi:[1,0,1] neg_lo:[0,0,1] neg_hi:[0,0,1]
	v_add_f16_e32 v31, v44, v43
	v_pk_fma_f16 v36, 0x3b15b5ac, v35, v26 op_sel_hi:[1,0,1]
	v_pk_mul_f16 v28, 0xbbf13770, v28 op_sel_hi:[1,0]
	v_add_f16_sdwa v40, v44, v40 dst_sel:DWORD dst_unused:UNUSED_PAD src0_sel:WORD_1 src1_sel:DWORD
	v_pk_add_f16 v7, v27, v7
	v_pk_fma_f16 v26, 0x3b15b5ac, v35, v26 op_sel_hi:[1,0,1] neg_lo:[0,0,1] neg_hi:[0,0,1]
	v_add_f16_e32 v27, v36, v31
	v_pk_fma_f16 v31, 0x2fb73b15, v34, v28 op_sel_hi:[1,0,1]
	v_pk_mul_f16 v29, 0x33a8ba95, v29 op_sel_hi:[1,0]
	v_add_f16_sdwa v35, v36, v40 dst_sel:DWORD dst_unused:UNUSED_PAD src0_sel:WORD_1 src1_sel:DWORD
	v_pk_add_f16 v7, v26, v7
	;; [unrolled: 6-line block ×3, first 2 shown]
	v_pk_fma_f16 v26, 0xbbc4388b, v37, v29 op_sel_hi:[1,0,1] neg_lo:[0,0,1] neg_hi:[0,0,1]
	v_pk_fma_f16 v13, 0xbbc43b15, v12, v13 op_sel_hi:[1,0,1] neg_lo:[0,0,1] neg_hi:[0,0,1]
	v_add_f16_e32 v27, v28, v27
	v_pk_fma_f16 v29, 0x388bb9fd, v12, v34 op_sel_hi:[1,0,1]
	v_add_f16_sdwa v28, v28, v31 dst_sel:DWORD dst_unused:UNUSED_PAD src0_sel:WORD_1 src1_sel:DWORD
	v_pk_add_f16 v7, v26, v7
	v_mul_f16_e32 v26, 0xbb7b, v14
	v_mul_f16_e32 v14, 0x3bf1, v14
	v_pk_add_f16 v13, v13, v30
	v_pk_fma_f16 v30, 0x388bb9fd, v12, v34 op_sel_hi:[1,0,1] neg_lo:[0,0,1] neg_hi:[0,0,1]
	v_add_f16_e32 v27, v29, v27
	v_add_f16_sdwa v28, v29, v28 dst_sel:DWORD dst_unused:UNUSED_PAD src0_sel:WORD_1 src1_sel:DWORD
	v_fmamk_f16 v29, v12, 0xb5ac, v26
	v_fma_f16 v26, v12, 0xb5ac, -v26
	v_fmamk_f16 v31, v12, 0x2fb7, v14
	v_fma_f16 v12, v12, 0x2fb7, -v14
	v_pk_add_f16 v14, v30, v7
	v_add_f16_e32 v7, v29, v41
	v_add_f16_e32 v26, v26, v32
	;; [unrolled: 1-line block ×4, first 2 shown]
	v_lshrrev_b32_e32 v12, 16, v14
	s_waitcnt lgkmcnt(0)
	s_barrier
	buffer_gl0_inv
	ds_write_b16 v16, v15
	ds_write_b16 v16, v38 offset:34
	ds_write_b16 v16, v42 offset:68
	;; [unrolled: 1-line block ×5, first 2 shown]
	v_lshrrev_b32_e32 v15, 16, v13
	ds_write_b16 v16, v29 offset:204
	ds_write_b16 v16, v30 offset:238
	;; [unrolled: 1-line block ×7, first 2 shown]
	s_waitcnt lgkmcnt(0)
	s_barrier
	buffer_gl0_inv
	ds_read_u16 v26, v6
	ds_read_u16 v30, v6 offset:442
	ds_read_u16 v27, v6 offset:884
	;; [unrolled: 1-line block ×8, first 2 shown]
                                        ; implicit-def: $vgpr16
	s_and_saveexec_b32 s1, s0
	s_cbranch_execz .LBB0_19
; %bb.18:
	ds_read_u16 v0, v6 offset:2074
	ds_read_u16 v1, v6 offset:2958
	;; [unrolled: 1-line block ×7, first 2 shown]
	s_waitcnt lgkmcnt(6)
	ds_read_u16_d16_hi v0, v6 offset:2516
	s_waitcnt lgkmcnt(6)
	ds_read_u16_d16_hi v1, v6 offset:3400
.LBB0_19:
	s_or_b32 exec_lo, exec_lo, s1
	s_and_saveexec_b32 s1, vcc_lo
	s_cbranch_execz .LBB0_22
; %bb.20:
	v_lshlrev_b32_e32 v6, 3, v9
	v_mov_b32_e32 v7, 0
	v_mad_u64_u32 v[43:44], null, s2, v9, 0
	v_add_nc_u32_e32 v63, 0xdd, v9
	v_add_nc_u32_e32 v64, 0x1ba, v9
	v_lshlrev_b64 v[35:36], 2, v[6:7]
	v_add_nc_u32_e32 v65, 0x297, v9
	v_add_nc_u32_e32 v66, 0x374, v9
	v_add_nc_u32_e32 v67, 0x451, v9
	v_add_nc_u32_e32 v68, 0x52e, v9
	v_mad_u64_u32 v[45:46], null, s2, v63, 0
	v_add_co_u32 v39, vcc_lo, s8, v35
	v_add_co_ci_u32_e32 v40, vcc_lo, s9, v36, vcc_lo
	v_add_nc_u32_e32 v69, 0x60b, v9
	s_clause 0x1
	global_load_dwordx4 v[35:38], v[39:40], off offset:816
	global_load_dwordx4 v[39:42], v[39:40], off offset:832
	v_add_nc_u32_e32 v70, 0x6e8, v9
	v_mad_u64_u32 v[47:48], null, s2, v64, 0
	v_mad_u64_u32 v[49:50], null, s2, v65, 0
	;; [unrolled: 1-line block ×3, first 2 shown]
	v_mov_b32_e32 v6, v44
	v_mad_u64_u32 v[53:54], null, s2, v67, 0
	v_mad_u64_u32 v[55:56], null, s2, v68, 0
	;; [unrolled: 1-line block ×5, first 2 shown]
	v_mov_b32_e32 v6, v46
	v_mov_b32_e32 v44, v48
	;; [unrolled: 1-line block ×6, first 2 shown]
	v_mad_u64_u32 v[62:63], null, s3, v63, v[6:7]
	v_mov_b32_e32 v54, v58
	v_mov_b32_e32 v56, v60
	v_mad_u64_u32 v[63:64], null, s3, v64, v[44:45]
	v_mad_u64_u32 v[64:65], null, s3, v65, v[46:47]
	;; [unrolled: 1-line block ×5, first 2 shown]
	v_mov_b32_e32 v44, v61
	v_mad_u64_u32 v[60:61], null, s3, v69, v[54:55]
	v_mad_u64_u32 v[68:69], null, s3, v70, v[56:57]
	v_mov_b32_e32 v50, v64
	v_mov_b32_e32 v52, v65
	;; [unrolled: 1-line block ×8, first 2 shown]
	v_lshlrev_b64 v[43:44], 2, v[43:44]
	v_add_co_u32 v4, vcc_lo, s12, v4
	v_add_co_ci_u32_e32 v5, vcc_lo, s13, v5, vcc_lo
	v_lshlrev_b64 v[45:46], 2, v[45:46]
	v_lshlrev_b64 v[47:48], 2, v[47:48]
	v_add_co_u32 v43, vcc_lo, v4, v43
	v_add_co_ci_u32_e32 v44, vcc_lo, v5, v44, vcc_lo
	v_lshlrev_b64 v[49:50], 2, v[49:50]
	v_add_co_u32 v45, vcc_lo, v4, v45
	v_add_co_ci_u32_e32 v46, vcc_lo, v5, v46, vcc_lo
	;; [unrolled: 3-line block ×7, first 2 shown]
	v_add_co_u32 v57, vcc_lo, v4, v57
	v_add_co_ci_u32_e32 v58, vcc_lo, v5, v58, vcc_lo
	v_add_co_u32 v59, vcc_lo, v4, v59
	v_add_co_ci_u32_e32 v60, vcc_lo, v5, v60, vcc_lo
	s_waitcnt vmcnt(1)
	v_mul_f16_sdwa v6, v18, v35 dst_sel:DWORD dst_unused:UNUSED_PAD src0_sel:DWORD src1_sel:WORD_1
	s_waitcnt vmcnt(0)
	v_mul_f16_sdwa v61, v22, v42 dst_sel:DWORD dst_unused:UNUSED_PAD src0_sel:DWORD src1_sel:WORD_1
	v_mul_f16_sdwa v64, v20, v36 dst_sel:DWORD dst_unused:UNUSED_PAD src0_sel:DWORD src1_sel:WORD_1
	;; [unrolled: 1-line block ×3, first 2 shown]
	s_waitcnt lgkmcnt(3)
	v_mul_f16_sdwa v68, v29, v39 dst_sel:DWORD dst_unused:UNUSED_PAD src0_sel:DWORD src1_sel:WORD_1
	v_mul_f16_sdwa v69, v28, v38 dst_sel:DWORD dst_unused:UNUSED_PAD src0_sel:DWORD src1_sel:WORD_1
	s_waitcnt lgkmcnt(1)
	v_mul_f16_sdwa v70, v32, v41 dst_sel:DWORD dst_unused:UNUSED_PAD src0_sel:DWORD src1_sel:WORD_1
	v_mul_f16_sdwa v71, v27, v36 dst_sel:DWORD dst_unused:UNUSED_PAD src0_sel:DWORD src1_sel:WORD_1
	;; [unrolled: 1-line block ×4, first 2 shown]
	s_waitcnt lgkmcnt(0)
	v_mul_f16_sdwa v74, v34, v42 dst_sel:DWORD dst_unused:UNUSED_PAD src0_sel:DWORD src1_sel:WORD_1
	v_mul_f16_sdwa v75, v30, v35 dst_sel:DWORD dst_unused:UNUSED_PAD src0_sel:DWORD src1_sel:WORD_1
	;; [unrolled: 1-line block ×6, first 2 shown]
	v_fmac_f16_e32 v6, v30, v35
	v_fmac_f16_e32 v61, v34, v42
	;; [unrolled: 1-line block ×4, first 2 shown]
	v_fma_f16 v24, v24, v39, -v68
	v_fma_f16 v23, v23, v38, -v69
	;; [unrolled: 1-line block ×8, first 2 shown]
	v_fmac_f16_e32 v62, v31, v37
	v_fmac_f16_e32 v63, v33, v40
	v_sub_f16_e32 v27, v6, v61
	v_add_f16_e32 v32, v20, v25
	v_add_f16_e32 v33, v19, v21
	;; [unrolled: 1-line block ×3, first 2 shown]
	v_sub_f16_e32 v18, v18, v22
	v_sub_f16_e32 v19, v19, v21
	;; [unrolled: 1-line block ×3, first 2 shown]
	v_add_f16_e32 v22, v64, v65
	v_add_f16_e32 v6, v6, v61
	v_fmac_f16_e32 v66, v28, v38
	v_sub_f16_e32 v20, v20, v25
	v_add_f16_e32 v35, v62, v63
	v_mul_f16_e32 v38, 0x3be1, v21
	v_add_f16_e32 v40, v6, v22
	v_add_f16_e32 v41, v34, v32
	v_fmac_f16_e32 v67, v29, v39
	v_mul_f16_e32 v69, 0xb924, v21
	v_mul_f16_e32 v71, 0x3be1, v20
	v_fma_f16 v38, v20, 0xb924, -v38
	v_add_f16_e32 v72, v35, v40
	v_add_f16_e32 v73, v33, v41
	v_sub_f16_e32 v30, v66, v67
	v_add_f16_e32 v31, v23, v24
	v_add_f16_e32 v25, v66, v67
	v_fmac_f16_e32 v69, 0x3be1, v18
	v_fmac_f16_e32 v71, 0x3924, v18
	;; [unrolled: 1-line block ×3, first 2 shown]
	v_add_f16_e32 v66, v66, v72
	v_add_f16_e32 v23, v23, v73
	v_sub_f16_e32 v28, v62, v63
	v_sub_f16_e32 v29, v64, v65
	v_add_f16_e32 v63, v18, v21
	v_fmac_f16_e32 v69, 0xbaee, v19
	v_fmac_f16_e32 v71, 0x3aee, v19
	;; [unrolled: 1-line block ×3, first 2 shown]
	v_add_f16_e32 v18, v67, v66
	v_add_f16_e32 v19, v24, v23
	v_mul_f16_e32 v36, 0x3be1, v30
	v_fmamk_f16 v37, v32, 0x3a21, v17
	v_fmamk_f16 v39, v22, 0x3a21, v26
	v_mul_f16_e32 v64, 0xb924, v30
	v_fmamk_f16 v65, v31, 0x3a21, v17
	v_fmamk_f16 v68, v25, 0x3a21, v26
	v_add_f16_e32 v61, v17, v33
	v_add_f16_e32 v62, v26, v35
	v_mul_f16_e32 v70, 0x3be1, v29
	v_add_f16_e32 v18, v26, v18
	v_add_f16_e32 v19, v17, v19
	v_fmac_f16_e32 v17, 0x3a21, v34
	v_fmac_f16_e32 v26, 0x3a21, v6
	v_fma_f16 v36, v29, 0xb924, -v36
	v_fmac_f16_e32 v37, 0x318f, v31
	v_fmac_f16_e32 v39, 0x318f, v25
	;; [unrolled: 1-line block ×8, first 2 shown]
	v_add_f16_e32 v42, v27, v30
	v_add_f16_e32 v41, v41, v31
	;; [unrolled: 1-line block ×3, first 2 shown]
	v_fmac_f16_e32 v36, 0x3aee, v28
	v_fmac_f16_e32 v37, -0.5, v33
	v_fmac_f16_e32 v39, -0.5, v35
	v_fmac_f16_e32 v64, 0xbaee, v28
	v_fmac_f16_e32 v65, -0.5, v33
	v_fmac_f16_e32 v68, -0.5, v35
	;; [unrolled: 3-line block ×3, first 2 shown]
	v_sub_f16_e32 v42, v42, v29
	v_sub_f16_e32 v63, v63, v20
	v_fmac_f16_e32 v61, -0.5, v41
	v_fmac_f16_e32 v62, -0.5, v40
	v_fmac_f16_e32 v36, 0x3579, v27
	v_fmac_f16_e32 v37, 0xbb84, v34
	;; [unrolled: 1-line block ×11, first 2 shown]
	v_mul_f16_e32 v72, 0x3aee, v42
	v_mul_f16_e32 v40, 0x3aee, v63
	v_fmac_f16_e32 v61, 0x3aee, v42
	v_fmac_f16_e32 v62, 0xbaee, v63
	v_add_f16_e32 v6, v36, v37
	v_sub_f16_e32 v20, v39, v38
	v_add_f16_e32 v23, v64, v65
	v_sub_f16_e32 v24, v68, v69
	v_pack_b32_f16 v18, v19, v18
	v_add_f16_e32 v17, v70, v17
	v_sub_f16_e32 v19, v26, v71
	v_fma_f16 v21, -2.0, v72, v61
	v_fma_f16 v22, 2.0, v40, v62
	v_fma_f16 v28, -2.0, v36, v6
	v_fma_f16 v29, 2.0, v38, v20
	;; [unrolled: 2-line block ×3, first 2 shown]
	global_store_dword v[43:44], v18, off
	v_pack_b32_f16 v18, v17, v19
	v_fma_f16 v17, -2.0, v70, v17
	v_fma_f16 v19, 2.0, v71, v19
	v_pack_b32_f16 v6, v6, v20
	v_pack_b32_f16 v23, v23, v24
	;; [unrolled: 1-line block ×7, first 2 shown]
	global_store_dword v[45:46], v18, off
	global_store_dword v[47:48], v23, off
	global_store_dword v[49:50], v27, off
	global_store_dword v[51:52], v6, off
	global_store_dword v[53:54], v21, off
	global_store_dword v[55:56], v20, off
	global_store_dword v[57:58], v22, off
	global_store_dword v[59:60], v17, off
	s_and_b32 exec_lo, exec_lo, s0
	s_cbranch_execz .LBB0_22
; %bb.21:
	v_add_nc_u32_e32 v41, 0x99, v9
	v_add_nc_u32_e32 v6, 0xffffffbc, v9
	;; [unrolled: 1-line block ×6, first 2 shown]
	v_cndmask_b32_e64 v6, v6, v41, s0
	v_add_nc_u32_e32 v46, 0x4ea, v9
	v_add_nc_u32_e32 v47, 0x5c7, v9
	;; [unrolled: 1-line block ×4, first 2 shown]
	v_lshlrev_b32_e32 v6, 3, v6
	v_mad_u64_u32 v[25:26], null, s2, v42, 0
	v_mad_u64_u32 v[27:28], null, s2, v43, 0
	v_lshlrev_b64 v[6:7], 2, v[6:7]
	v_mad_u64_u32 v[29:30], null, s2, v44, 0
	v_mad_u64_u32 v[31:32], null, s2, v45, 0
	;; [unrolled: 1-line block ×3, first 2 shown]
	v_add_co_u32 v6, vcc_lo, s8, v6
	v_add_co_ci_u32_e32 v7, vcc_lo, s9, v7, vcc_lo
	v_mad_u64_u32 v[35:36], null, s2, v47, 0
	s_clause 0x1
	global_load_dwordx4 v[17:20], v[6:7], off offset:816
	global_load_dwordx4 v[21:24], v[6:7], off offset:832
	v_mad_u64_u32 v[6:7], null, s2, v41, 0
	v_mad_u64_u32 v[37:38], null, s2, v48, 0
	;; [unrolled: 1-line block ×3, first 2 shown]
	v_mov_b32_e32 v9, v26
	v_mov_b32_e32 v26, v28
	;; [unrolled: 1-line block ×8, first 2 shown]
	v_mad_u64_u32 v[40:41], null, s3, v41, v[7:8]
	v_mad_u64_u32 v[41:42], null, s3, v42, v[9:10]
	;; [unrolled: 1-line block ×4, first 2 shown]
	v_mov_b32_e32 v7, v40
	v_mad_u64_u32 v[44:45], null, s3, v45, v[30:31]
	v_mov_b32_e32 v26, v41
	v_mov_b32_e32 v28, v42
	v_lshlrev_b64 v[6:7], 2, v[6:7]
	v_mad_u64_u32 v[45:46], null, s3, v46, v[32:33]
	v_lshlrev_b64 v[25:26], 2, v[25:26]
	v_mov_b32_e32 v30, v43
	v_mad_u64_u32 v[46:47], null, s3, v47, v[34:35]
	v_lshlrev_b64 v[27:28], 2, v[27:28]
	v_add_co_u32 v6, vcc_lo, v4, v6
	v_mov_b32_e32 v32, v44
	v_mad_u64_u32 v[47:48], null, s3, v48, v[36:37]
	v_add_co_ci_u32_e32 v7, vcc_lo, v5, v7, vcc_lo
	v_lshlrev_b64 v[29:30], 2, v[29:30]
	v_add_co_u32 v25, vcc_lo, v4, v25
	v_mov_b32_e32 v34, v45
	v_mad_u64_u32 v[48:49], null, s3, v49, v[38:39]
	v_add_co_ci_u32_e32 v26, vcc_lo, v5, v26, vcc_lo
	v_lshlrev_b64 v[31:32], 2, v[31:32]
	v_add_co_u32 v27, vcc_lo, v4, v27
	v_mov_b32_e32 v36, v46
	v_add_co_ci_u32_e32 v28, vcc_lo, v5, v28, vcc_lo
	v_lshlrev_b64 v[33:34], 2, v[33:34]
	v_add_co_u32 v29, vcc_lo, v4, v29
	v_mov_b32_e32 v38, v47
	;; [unrolled: 4-line block ×3, first 2 shown]
	v_add_co_ci_u32_e32 v32, vcc_lo, v5, v32, vcc_lo
	v_lshlrev_b64 v[37:38], 2, v[37:38]
	v_add_co_u32 v33, vcc_lo, v4, v33
	v_add_co_ci_u32_e32 v34, vcc_lo, v5, v34, vcc_lo
	v_lshlrev_b64 v[39:40], 2, v[39:40]
	v_add_co_u32 v35, vcc_lo, v4, v35
	v_add_co_ci_u32_e32 v36, vcc_lo, v5, v36, vcc_lo
	v_lshrrev_b32_e32 v52, 16, v0
	v_lshrrev_b32_e32 v53, 16, v3
	;; [unrolled: 1-line block ×3, first 2 shown]
	v_add_co_u32 v37, vcc_lo, v4, v37
	v_add_co_ci_u32_e32 v38, vcc_lo, v5, v38, vcc_lo
	v_add_co_u32 v4, vcc_lo, v4, v39
	v_lshrrev_b32_e32 v50, 16, v10
	v_lshrrev_b32_e32 v51, 16, v2
	v_add_co_ci_u32_e32 v5, vcc_lo, v5, v40, vcc_lo
	v_lshrrev_b32_e32 v55, 16, v8
	s_waitcnt vmcnt(1)
	v_mul_f16_sdwa v9, v14, v17 dst_sel:DWORD dst_unused:UNUSED_PAD src0_sel:DWORD src1_sel:WORD_1
	v_mul_f16_sdwa v39, v8, v17 dst_sel:DWORD dst_unused:UNUSED_PAD src0_sel:DWORD src1_sel:WORD_1
	;; [unrolled: 1-line block ×6, first 2 shown]
	s_waitcnt vmcnt(0)
	v_mul_f16_sdwa v46, v52, v21 dst_sel:DWORD dst_unused:UNUSED_PAD src0_sel:DWORD src1_sel:WORD_1
	v_mul_f16_sdwa v56, v54, v23 dst_sel:DWORD dst_unused:UNUSED_PAD src0_sel:DWORD src1_sel:WORD_1
	;; [unrolled: 1-line block ×10, first 2 shown]
	v_fma_f16 v8, v8, v17, -v9
	v_fmac_f16_e32 v39, v14, v17
	v_fma_f16 v9, v10, v18, -v40
	v_fmac_f16_e32 v41, v13, v18
	;; [unrolled: 2-line block ×3, first 2 shown]
	v_fma_f16 v0, v51, v21, -v46
	v_fma_f16 v11, v11, v24, -v58
	v_fmac_f16_e32 v59, v16, v24
	v_fma_f16 v13, v53, v23, -v56
	v_fmac_f16_e32 v57, v54, v23
	v_fma_f16 v10, v50, v19, -v42
	v_fmac_f16_e32 v43, v15, v19
	v_fmac_f16_e32 v47, v52, v21
	v_fma_f16 v3, v3, v22, -v48
	v_fmac_f16_e32 v49, v1, v22
	v_add_f16_e32 v1, v8, v11
	v_add_f16_e32 v14, v39, v59
	;; [unrolled: 1-line block ×4, first 2 shown]
	v_sub_f16_e32 v8, v8, v11
	v_sub_f16_e32 v19, v2, v0
	v_add_f16_e32 v17, v10, v3
	v_add_f16_e32 v18, v43, v49
	v_sub_f16_e32 v9, v9, v13
	v_sub_f16_e32 v13, v41, v57
	v_add_f16_e32 v21, v2, v0
	v_add_f16_e32 v22, v45, v47
	v_mul_f16_e32 v23, 0x3924, v8
	v_mul_f16_e32 v41, 0xb924, v19
	v_add_f16_e32 v51, v15, v1
	v_add_f16_e32 v52, v16, v14
	v_mul_f16_e32 v53, 0x3be1, v19
	v_sub_f16_e32 v3, v10, v3
	v_fmac_f16_e32 v23, 0x3be1, v9
	v_fmac_f16_e32 v41, 0x3be1, v8
	v_add_f16_e32 v56, v21, v51
	v_add_f16_e32 v57, v22, v52
	v_fma_f16 v53, v9, 0xb924, -v53
	v_add_f16_e32 v51, v17, v51
	v_add_f16_e32 v52, v18, v52
	v_fmac_f16_e32 v23, 0x3aee, v3
	v_fmac_f16_e32 v41, 0xbaee, v3
	;; [unrolled: 1-line block ×3, first 2 shown]
	v_add_f16_e32 v2, v2, v51
	v_add_f16_e32 v3, v45, v52
	v_sub_f16_e32 v11, v39, v59
	v_sub_f16_e32 v20, v45, v47
	v_sub_f16_e32 v10, v43, v49
	v_add_f16_e32 v0, v0, v2
	v_add_f16_e32 v2, v47, v3
	v_mul_f16_e32 v24, 0x3924, v11
	v_fmamk_f16 v39, v1, 0x3a21, v55
	v_fmamk_f16 v40, v14, 0x3a21, v12
	v_mul_f16_e32 v42, 0xb924, v20
	v_fmamk_f16 v43, v21, 0x3a21, v55
	v_fmamk_f16 v44, v22, 0x3a21, v12
	v_add_f16_e32 v49, v55, v17
	v_add_f16_e32 v50, v12, v18
	v_mul_f16_e32 v54, 0x3be1, v20
	v_add_f16_e32 v0, v55, v0
	v_add_f16_e32 v2, v12, v2
	v_fmac_f16_e32 v55, 0x3a21, v15
	v_fmac_f16_e32 v12, 0x3a21, v16
	v_add_f16_e32 v46, v19, v8
	v_add_f16_e32 v48, v20, v11
	v_fmac_f16_e32 v24, 0x3be1, v13
	v_fmac_f16_e32 v39, 0x318f, v15
	;; [unrolled: 1-line block ×6, first 2 shown]
	v_fma_f16 v54, v13, 0xb924, -v54
	v_fmac_f16_e32 v55, 0x318f, v21
	v_fmac_f16_e32 v12, 0x318f, v22
	v_sub_f16_e32 v46, v46, v9
	v_sub_f16_e32 v48, v48, v13
	v_fmac_f16_e32 v24, 0x3aee, v10
	v_fmac_f16_e32 v39, -0.5, v17
	v_fmac_f16_e32 v40, -0.5, v18
	v_fmac_f16_e32 v42, 0xbaee, v10
	v_fmac_f16_e32 v43, -0.5, v17
	v_fmac_f16_e32 v44, -0.5, v18
	;; [unrolled: 1-line block ×4, first 2 shown]
	v_fmac_f16_e32 v54, 0x3aee, v10
	v_fmac_f16_e32 v55, -0.5, v17
	v_fmac_f16_e32 v12, -0.5, v18
	v_mul_f16_e32 v58, 0x3aee, v46
	v_mul_f16_e32 v59, 0x3aee, v48
	v_fmac_f16_e32 v23, 0x3579, v19
	v_fmac_f16_e32 v24, 0x3579, v20
	;; [unrolled: 1-line block ×14, first 2 shown]
	v_add_f16_e32 v3, v24, v39
	v_sub_f16_e32 v8, v40, v23
	v_add_f16_e32 v9, v42, v43
	v_sub_f16_e32 v10, v44, v41
	v_fma_f16 v11, -2.0, v59, v49
	v_fma_f16 v13, 2.0, v58, v50
	v_pack_b32_f16 v0, v0, v2
	v_add_f16_e32 v2, v54, v55
	v_sub_f16_e32 v12, v12, v53
	v_fma_f16 v16, -2.0, v24, v3
	v_fma_f16 v17, 2.0, v23, v8
	v_fma_f16 v1, -2.0, v42, v9
	v_fma_f16 v14, 2.0, v41, v10
	v_pack_b32_f16 v3, v3, v8
	v_pack_b32_f16 v8, v9, v10
	;; [unrolled: 1-line block ×3, first 2 shown]
	v_fma_f16 v10, -2.0, v54, v2
	v_fma_f16 v11, 2.0, v53, v12
	v_pack_b32_f16 v15, v49, v50
	global_store_dword v[6:7], v0, off
	global_store_dword v[25:26], v3, off
	;; [unrolled: 1-line block ×3, first 2 shown]
	v_pack_b32_f16 v0, v2, v12
	v_pack_b32_f16 v1, v1, v14
	;; [unrolled: 1-line block ×4, first 2 shown]
	global_store_dword v[29:30], v15, off
	global_store_dword v[31:32], v0, off
	;; [unrolled: 1-line block ×6, first 2 shown]
.LBB0_22:
	s_endpgm
	.section	.rodata,"a",@progbits
	.p2align	6, 0x0
	.amdhsa_kernel fft_rtc_fwd_len1989_factors_17_13_9_wgs_153_tpt_153_halfLds_half_ip_CI_sbrr_dirReg
		.amdhsa_group_segment_fixed_size 0
		.amdhsa_private_segment_fixed_size 0
		.amdhsa_kernarg_size 88
		.amdhsa_user_sgpr_count 6
		.amdhsa_user_sgpr_private_segment_buffer 1
		.amdhsa_user_sgpr_dispatch_ptr 0
		.amdhsa_user_sgpr_queue_ptr 0
		.amdhsa_user_sgpr_kernarg_segment_ptr 1
		.amdhsa_user_sgpr_dispatch_id 0
		.amdhsa_user_sgpr_flat_scratch_init 0
		.amdhsa_user_sgpr_private_segment_size 0
		.amdhsa_wavefront_size32 1
		.amdhsa_uses_dynamic_stack 0
		.amdhsa_system_sgpr_private_segment_wavefront_offset 0
		.amdhsa_system_sgpr_workgroup_id_x 1
		.amdhsa_system_sgpr_workgroup_id_y 0
		.amdhsa_system_sgpr_workgroup_id_z 0
		.amdhsa_system_sgpr_workgroup_info 0
		.amdhsa_system_vgpr_workitem_id 0
		.amdhsa_next_free_vgpr 86
		.amdhsa_next_free_sgpr 23
		.amdhsa_reserve_vcc 1
		.amdhsa_reserve_flat_scratch 0
		.amdhsa_float_round_mode_32 0
		.amdhsa_float_round_mode_16_64 0
		.amdhsa_float_denorm_mode_32 3
		.amdhsa_float_denorm_mode_16_64 3
		.amdhsa_dx10_clamp 1
		.amdhsa_ieee_mode 1
		.amdhsa_fp16_overflow 0
		.amdhsa_workgroup_processor_mode 1
		.amdhsa_memory_ordered 1
		.amdhsa_forward_progress 0
		.amdhsa_shared_vgpr_count 0
		.amdhsa_exception_fp_ieee_invalid_op 0
		.amdhsa_exception_fp_denorm_src 0
		.amdhsa_exception_fp_ieee_div_zero 0
		.amdhsa_exception_fp_ieee_overflow 0
		.amdhsa_exception_fp_ieee_underflow 0
		.amdhsa_exception_fp_ieee_inexact 0
		.amdhsa_exception_int_div_zero 0
	.end_amdhsa_kernel
	.text
.Lfunc_end0:
	.size	fft_rtc_fwd_len1989_factors_17_13_9_wgs_153_tpt_153_halfLds_half_ip_CI_sbrr_dirReg, .Lfunc_end0-fft_rtc_fwd_len1989_factors_17_13_9_wgs_153_tpt_153_halfLds_half_ip_CI_sbrr_dirReg
                                        ; -- End function
	.section	.AMDGPU.csdata,"",@progbits
; Kernel info:
; codeLenInByte = 13804
; NumSgprs: 25
; NumVgprs: 86
; ScratchSize: 0
; MemoryBound: 0
; FloatMode: 240
; IeeeMode: 1
; LDSByteSize: 0 bytes/workgroup (compile time only)
; SGPRBlocks: 3
; VGPRBlocks: 10
; NumSGPRsForWavesPerEU: 25
; NumVGPRsForWavesPerEU: 86
; Occupancy: 10
; WaveLimiterHint : 1
; COMPUTE_PGM_RSRC2:SCRATCH_EN: 0
; COMPUTE_PGM_RSRC2:USER_SGPR: 6
; COMPUTE_PGM_RSRC2:TRAP_HANDLER: 0
; COMPUTE_PGM_RSRC2:TGID_X_EN: 1
; COMPUTE_PGM_RSRC2:TGID_Y_EN: 0
; COMPUTE_PGM_RSRC2:TGID_Z_EN: 0
; COMPUTE_PGM_RSRC2:TIDIG_COMP_CNT: 0
	.text
	.p2alignl 6, 3214868480
	.fill 48, 4, 3214868480
	.type	__hip_cuid_58c3d9e78c41e64e,@object ; @__hip_cuid_58c3d9e78c41e64e
	.section	.bss,"aw",@nobits
	.globl	__hip_cuid_58c3d9e78c41e64e
__hip_cuid_58c3d9e78c41e64e:
	.byte	0                               ; 0x0
	.size	__hip_cuid_58c3d9e78c41e64e, 1

	.ident	"AMD clang version 19.0.0git (https://github.com/RadeonOpenCompute/llvm-project roc-6.4.0 25133 c7fe45cf4b819c5991fe208aaa96edf142730f1d)"
	.section	".note.GNU-stack","",@progbits
	.addrsig
	.addrsig_sym __hip_cuid_58c3d9e78c41e64e
	.amdgpu_metadata
---
amdhsa.kernels:
  - .args:
      - .actual_access:  read_only
        .address_space:  global
        .offset:         0
        .size:           8
        .value_kind:     global_buffer
      - .offset:         8
        .size:           8
        .value_kind:     by_value
      - .actual_access:  read_only
        .address_space:  global
        .offset:         16
        .size:           8
        .value_kind:     global_buffer
      - .actual_access:  read_only
        .address_space:  global
        .offset:         24
        .size:           8
        .value_kind:     global_buffer
      - .offset:         32
        .size:           8
        .value_kind:     by_value
      - .actual_access:  read_only
        .address_space:  global
        .offset:         40
        .size:           8
        .value_kind:     global_buffer
      - .actual_access:  read_only
        .address_space:  global
        .offset:         48
        .size:           8
        .value_kind:     global_buffer
      - .offset:         56
        .size:           4
        .value_kind:     by_value
      - .actual_access:  read_only
        .address_space:  global
        .offset:         64
        .size:           8
        .value_kind:     global_buffer
      - .actual_access:  read_only
        .address_space:  global
        .offset:         72
        .size:           8
        .value_kind:     global_buffer
      - .address_space:  global
        .offset:         80
        .size:           8
        .value_kind:     global_buffer
    .group_segment_fixed_size: 0
    .kernarg_segment_align: 8
    .kernarg_segment_size: 88
    .language:       OpenCL C
    .language_version:
      - 2
      - 0
    .max_flat_workgroup_size: 153
    .name:           fft_rtc_fwd_len1989_factors_17_13_9_wgs_153_tpt_153_halfLds_half_ip_CI_sbrr_dirReg
    .private_segment_fixed_size: 0
    .sgpr_count:     25
    .sgpr_spill_count: 0
    .symbol:         fft_rtc_fwd_len1989_factors_17_13_9_wgs_153_tpt_153_halfLds_half_ip_CI_sbrr_dirReg.kd
    .uniform_work_group_size: 1
    .uses_dynamic_stack: false
    .vgpr_count:     86
    .vgpr_spill_count: 0
    .wavefront_size: 32
    .workgroup_processor_mode: 1
amdhsa.target:   amdgcn-amd-amdhsa--gfx1030
amdhsa.version:
  - 1
  - 2
...

	.end_amdgpu_metadata
